;; amdgpu-corpus repo=ROCm/aiter kind=harvested arch=n/a opt=n/a

/root/src/amdgpu-assembly/repos/ROCm__aiter/hsa/gfx950/fmoe_2stages/fmoe_stage1_bf16_pertokenFp8_doweight_g1u1_48x64_3tg_pf2.co:	file format elf64-amdgpu

Disassembly of section .text:

0000000000002a00 <_ZN5aiter56fmoe_stage1_bf16_pertokenFp8_doweight_g1u1_48x64_3tg_pf2E>:
	s_and_b32 s1, s1, 0xffff                                   // 000000002A00: 8601FF01 0000FFFF
	s_load_dwordx2 s[8:9], s[0:1], 0x0                         // 000000002A08: C0060200 00000000
	s_load_dwordx2 s[20:21], s[0:1], 0x10                      // 000000002A10: C0060500 00000010
	s_load_dwordx2 s[24:25], s[0:1], 0x20                      // 000000002A18: C0060600 00000020
	s_load_dwordx2 s[48:49], s[0:1], 0x30                      // 000000002A20: C0060C00 00000030
	s_load_dwordx2 s[28:29], s[0:1], 0x40                      // 000000002A28: C0060700 00000040
	s_load_dwordx2 s[32:33], s[0:1], 0x50                      // 000000002A30: C0060800 00000050
	s_load_dwordx2 s[36:37], s[0:1], 0x60                      // 000000002A38: C0060900 00000060
	s_load_dwordx2 s[12:13], s[0:1], 0x70                      // 000000002A40: C0060300 00000070
	s_load_dwordx2 s[44:45], s[0:1], 0x80                      // 000000002A48: C0060B00 00000080
	s_mov_b32 s89, 0                                           // 000000002A50: BED90080
	s_load_dword s64, s[0:1], 0x90                             // 000000002A54: C0021000 00000090
	s_load_dword s65, s[0:1], 0xa0                             // 000000002A5C: C0021040 000000A0
	s_load_dword s66, s[0:1], 0xb0                             // 000000002A64: C0021080 000000B0
	s_load_dword s67, s[0:1], 0xc0                             // 000000002A6C: C00210C0 000000C0
	s_load_dword s68, s[0:1], 0xd0                             // 000000002A74: C0021100 000000D0
	s_load_dword s69, s[0:1], 0xe0                             // 000000002A7C: C0021140 000000E0
	s_load_dword s71, s[0:1], 0xf0                             // 000000002A84: C00211C0 000000F0
	s_load_dword s72, s[0:1], 0x100                            // 000000002A8C: C0021200 00000100
	s_load_dword s74, s[0:1], 0x110                            // 000000002A94: C0021280 00000110
	s_load_dword s76, s[0:1], 0x120                            // 000000002A9C: C0021300 00000120
	s_load_dword s56, s[0:1], 0x130                            // 000000002AA4: C0020E00 00000130
	s_load_dword s88, s[0:1], 0x140                            // 000000002AAC: C0021600 00000140
	s_load_dword s89, s[0:1], 0x150                            // 000000002AB4: C0021640 00000150
	s_load_dwordx2 s[40:41], s[0:1], 0x160                     // 000000002ABC: C0060A00 00000160
	v_lshrrev_b32_e32 v1, 10, v0                               // 000000002AC4: 2002008A
	v_lshrrev_b32_e32 v2, 10, v1                               // 000000002AC8: 2004028A
	v_and_b32_e32 v2, 0x3ff, v2                                // 000000002ACC: 260404FF 000003FF
	v_and_b32_e32 v1, 0x3ff, v1                                // 000000002AD4: 260202FF 000003FF
	v_and_b32_e32 v0, 0x3ff, v0                                // 000000002ADC: 260000FF 000003FF
	v_lshrrev_b32_e32 v3, 6, v0                                // 000000002AE4: 20060086
	v_and_b32_e32 v0, 63, v0                                   // 000000002AE8: 260000BF
	s_mov_b32 s2, s2                                           // 000000002AEC: BE820002
	s_mov_b32 s3, s3                                           // 000000002AF0: BE830003
	s_mov_b32 s4, s4                                           // 000000002AF4: BE840004
	v_readfirstlane_b32 s7, v3                                 // 000000002AF8: 7E0E0503
	s_waitcnt lgkmcnt(0)                                       // 000000002AFC: BF8CC07F
	s_and_b32 s49, s49, 0xffff                                 // 000000002B00: 8631FF31 0000FFFF
	s_load_dword s48, s[48:49], 0x0                            // 000000002B08: C0020C18 00000000
	s_and_b32 s45, s45, 0xffff                                 // 000000002B10: 862DFF2D 0000FFFF
	s_and_b32 s9, s9, 0xffff                                   // 000000002B18: 8609FF09 0000FFFF
	s_mul_i32 s60, s66, s68                                    // 000000002B20: 923C4442
	s_mul_i32 s61, s66, 4                                      // 000000002B24: 923D8442
	s_mov_b32 s22, s60                                         // 000000002B28: BE96003C
	s_mov_b32 s26, -16                                         // 000000002B2C: BE9A00D0
	s_mov_b32 s30, s61                                         // 000000002B30: BE9E003D
	s_mov_b32 s14, 0xc0                                        // 000000002B34: BE8E00FF 000000C0
	s_mov_b32 s38, -16                                         // 000000002B3C: BEA600D0
	s_mov_b32 s10, -16                                         // 000000002B40: BE8A00D0
	s_mov_b32 s34, 0x100                                       // 000000002B44: BEA200FF 00000100
	s_mov_b32 s23, 0x20000                                     // 000000002B4C: BE9700FF 00020000
	s_mov_b32 s27, 0x20000                                     // 000000002B54: BE9B00FF 00020000
	s_mov_b32 s31, 0x20000                                     // 000000002B5C: BE9F00FF 00020000
	s_mov_b32 s35, 0x20000                                     // 000000002B64: BEA300FF 00020000
	s_mov_b32 s15, 0x20000                                     // 000000002B6C: BE8F00FF 00020000
	s_mov_b32 s39, 0x20000                                     // 000000002B74: BEA700FF 00020000
	s_mov_b32 s11, 0x20000                                     // 000000002B7C: BE8B00FF 00020000
	s_and_b32 s21, s21, 0xffff                                 // 000000002B84: 8615FF15 0000FFFF
	s_and_b32 s25, s25, 0xffff                                 // 000000002B8C: 8619FF19 0000FFFF
	s_and_b32 s29, s29, 0xffff                                 // 000000002B94: 861DFF1D 0000FFFF
	s_and_b32 s33, s33, 0xffff                                 // 000000002B9C: 8621FF21 0000FFFF
	s_and_b32 s13, s13, 0xffff                                 // 000000002BA4: 860DFF0D 0000FFFF
	s_and_b32 s37, s37, 0xffff                                 // 000000002BAC: 8625FF25 0000FFFF
	s_or_b32 s21, s21, 0x40000                                 // 000000002BB4: 8715FF15 00040000
	s_or_b32 s25, s25, 0x40000                                 // 000000002BBC: 8719FF19 00040000
	s_or_b32 s29, s29, 0x40000                                 // 000000002BC4: 871DFF1D 00040000
	s_or_b32 s33, s33, 0x40000                                 // 000000002BCC: 8721FF21 00040000
	s_or_b32 s13, s13, 0x40000                                 // 000000002BD4: 870DFF0D 00040000
	s_or_b32 s37, s37, 0x40000                                 // 000000002BDC: 8725FF25 00040000
	s_mov_b32 s42, -16                                         // 000000002BE4: BEAA00D0
	s_mov_b32 s43, 0x20000                                     // 000000002BE8: BEAB00FF 00020000
	s_and_b32 s41, s41, 0xffff                                 // 000000002BF0: 8629FF29 0000FFFF
	s_or_b32 s41, s41, 0x40000                                 // 000000002BF8: 8729FF29 00040000
	v_accvgpr_write_b32 a63, 0                                 // 000000002C00: D3D9403F 18000080
	v_mov_b32_e32 v74, 0                                       // 000000002C08: 7E940280
	s_waitcnt lgkmcnt(0)                                       // 000000002C0C: BF8CC07F
	s_mul_i32 s60, s3, 48                                      // 000000002C10: 923CB003
	s_cmp_lt_i32 s60, s48                                      // 000000002C14: BF04303C
	s_cbranch_scc0 label_0E68                                  // 000000002C18: BF840DDE
	s_mov_b32 s80, 0                                           // 000000002C1C: BED00080
	s_lshr_b32 s81, s64, s88                                   // 000000002C20: 8F515840
	s_mul_i32 s60, s3, 4                                       // 000000002C24: 923C8403
	s_add_u32 s44, s60, s44                                    // 000000002C28: 802C2C3C
	s_addc_u32 s45, 0, s45                                     // 000000002C2C: 822D2D80
	s_load_dword s5, s[44:45], 0x0                             // 000000002C30: C0020156 00000000
	s_mul_i32 s60, s3, 48                                      // 000000002C38: 923CB003
	s_mul_i32 s60, 4, s60                                      // 000000002C3C: 923C3C84
	s_add_u32 s12, s60, s12                                    // 000000002C40: 800C0C3C
	s_addc_u32 s13, 0, s13                                     // 000000002C44: 820D0D80
	v_and_b32_e32 v4, 15, v0                                   // 000000002C48: 2608008F
	v_lshlrev_b32_e32 v4, 2, v4                                // 000000002C4C: 24080882
	buffer_load_dword v28, v4, s[12:15], 0 offen               // 000000002C50: E0501000 80031C04
	v_add_u32_e32 v4, 64, v4                                   // 000000002C58: 680808C0
	buffer_load_dword v29, v4, s[12:15], 0 offen               // 000000002C5C: E0501000 80031D04
	v_add_u32_e32 v4, 64, v4                                   // 000000002C64: 680808C0
	buffer_load_dword v30, v4, s[12:15], 0 offen               // 000000002C68: E0501000 80031E04
	v_add_u32_e32 v4, 64, v4                                   // 000000002C70: 680808C0
	s_mul_i32 s60, 4, s7                                       // 000000002C74: 923C0784
	v_lshlrev_b32_e32 v4, 4, v0                                // 000000002C78: 24080084
	v_add_u32_e32 v4, s60, v4                                  // 000000002C7C: 6808083C
	buffer_load_dword v3, v4, s[12:15], 0 offen                // 000000002C80: E0501000 80030304
	v_mov_b32_e32 v48, 0                                       // 000000002C88: 7E600280
	v_mov_b32_e32 v60, 0                                       // 000000002C8C: 7E780280
	v_mov_b32_e32 v49, 0                                       // 000000002C90: 7E620280
	v_mov_b32_e32 v61, 0                                       // 000000002C94: 7E7A0280
	v_mov_b32_e32 v50, 0                                       // 000000002C98: 7E640280
	v_mov_b32_e32 v62, 0                                       // 000000002C9C: 7E7C0280
	v_mov_b32_e32 v51, 0                                       // 000000002CA0: 7E660280
	v_mov_b32_e32 v63, 0                                       // 000000002CA4: 7E7E0280
	v_mov_b32_e32 v52, 0                                       // 000000002CA8: 7E680280
	v_mov_b32_e32 v64, 0                                       // 000000002CAC: 7E800280
	v_mov_b32_e32 v53, 0                                       // 000000002CB0: 7E6A0280
	v_mov_b32_e32 v65, 0                                       // 000000002CB4: 7E820280
	v_mov_b32_e32 v54, 0                                       // 000000002CB8: 7E6C0280
	v_mov_b32_e32 v66, 0                                       // 000000002CBC: 7E840280
	v_mov_b32_e32 v55, 0                                       // 000000002CC0: 7E6E0280
	v_mov_b32_e32 v67, 0                                       // 000000002CC4: 7E860280
	v_mov_b32_e32 v56, 0                                       // 000000002CC8: 7E700280
	v_mov_b32_e32 v68, 0                                       // 000000002CCC: 7E880280
	v_mov_b32_e32 v57, 0                                       // 000000002CD0: 7E720280
	v_mov_b32_e32 v69, 0                                       // 000000002CD4: 7E8A0280
	v_mov_b32_e32 v58, 0                                       // 000000002CD8: 7E740280
	v_mov_b32_e32 v70, 0                                       // 000000002CDC: 7E8C0280
	v_mov_b32_e32 v59, 0                                       // 000000002CE0: 7E760280
	v_mov_b32_e32 v71, 0                                       // 000000002CE4: 7E8E0280
	s_mul_i32 s60, s2, 0x80                                    // 000000002CE8: 923CFF02 00000080
	s_cmp_eq_u32 s88, 0                                        // 000000002CF0: BF068058
	s_cselect_b32 s61, 1, 2                                    // 000000002CF4: 853D8281
	s_mul_i32 s60, s60, s61                                    // 000000002CF8: 923C3D3C
	s_mov_b32 s90, s8                                          // 000000002CFC: BEDA0008
	s_mov_b32 s91, s9                                          // 000000002D00: BEDB0009
	s_add_u32 s8, s60, s8                                      // 000000002D04: 8008083C
	s_addc_u32 s9, 0, s9                                       // 000000002D08: 82090980
	v_lshrrev_b32_e32 v4, 4, v0                                // 000000002D0C: 20080084
	v_mul_lo_u32 v20, 34, v4                                   // 000000002D10: D2850014 000208A2
	v_and_b32_e32 v4, 15, v0                                   // 000000002D18: 2608008F
	v_mul_lo_u32 v5, 2, v4                                     // 000000002D1C: D2850005 00020882
	v_add_u32_e32 v20, v5, v20                                 // 000000002D24: 68282905
	s_mul_i32 s60, s7, 0x88                                    // 000000002D28: 923CFF07 00000088
	v_add_u32_e32 v20, s60, v20                                // 000000002D30: 6828283C
	v_lshlrev_b32_e32 v20, 2, v20                              // 000000002D34: 24282882
	v_and_b32_e32 v4, 31, v0                                   // 000000002D38: 2608009F
	v_lshrrev_b32_e32 v4, 1, v4                                // 000000002D3C: 20080881
	v_mul_lo_u32 v21, 34, v4                                   // 000000002D40: D2850015 000208A2
	v_lshrrev_b32_e32 v4, 5, v0                                // 000000002D48: 20080085
	v_mul_lo_u32 v4, 8, v4                                     // 000000002D4C: D2850004 00020888
	v_add_u32_e32 v21, v21, v4                                 // 000000002D54: 682A0915
	v_and_b32_e32 v5, 1, v0                                    // 000000002D58: 260A0081
	v_add_u32_e32 v21, v5, v21                                 // 000000002D5C: 682A2B05
	s_mul_i32 s60, s7, 2                                       // 000000002D60: 923C8207
	v_add_u32_e32 v21, s60, v21                                // 000000002D64: 682A2A3C
	v_lshlrev_b32_e32 v21, 2, v21                              // 000000002D68: 242A2A82
	s_mul_i32 s60, s7, 0x620                                   // 000000002D6C: 923CFF07 00000620
	s_add_u32 s48, 0, s60                                      // 000000002D74: 80303C80
	s_add_u32 s49, 0x1880, s48                                 // 000000002D78: 803130FF 00001880
	v_lshrrev_b32_e32 v4, 4, v0                                // 000000002D80: 20080084
	v_lshlrev_b32_e32 v5, 2, v4                                // 000000002D84: 240A0882
	v_and_b32_e32 v4, 15, v0                                   // 000000002D88: 2608008F
	v_lshrrev_b32_e32 v6, 2, v4                                // 000000002D8C: 200C0882
	v_lshlrev_b32_e32 v6, 5, v6                                // 000000002D90: 240C0C85
	v_add_u32_e32 v5, v6, v5                                   // 000000002D94: 680A0B06
	v_and_b32_e32 v4, 3, v0                                    // 000000002D98: 26080083
	v_mul_u32_u24_e32 v6, 0x188, v4                            // 000000002D9C: 100C08FF 00000188
	v_add_u32_e32 v5, v6, v5                                   // 000000002DA4: 680A0B06
	v_lshlrev_b32_e32 v2, 2, v5                                // 000000002DA8: 24040A82
	s_waitcnt lgkmcnt(0)                                       // 000000002DAC: BF8CC07F
	s_mul_i32 s60, s2, 64                                      // 000000002DB0: 923CC002
	s_mul_i32 s60, s60, s69                                    // 000000002DB4: 923C453C
	s_mul_i32 s61, s5, s72                                     // 000000002DB8: 923D4805
	s_add_u32 s60, s61, s60                                    // 000000002DBC: 803C3C3D
	s_add_u32 s24, s60, s24                                    // 000000002DC0: 8018183C
	s_addc_u32 s25, 0, s25                                     // 000000002DC4: 82191980
	s_lshr_b32 s60, s64, s88                                   // 000000002DC8: 8F3C5840
	s_mul_i32 s60, s4, s60                                     // 000000002DCC: 923C3C04
	s_lshr_b32 s60, s60, 7                                     // 000000002DD0: 8F3C873C
	s_mul_i32 s60, s60, 0x800                                  // 000000002DD4: 923CFF3C 00000800
	s_add_u32 s24, s60, s24                                    // 000000002DDC: 8018183C
	s_addc_u32 s25, 0, s25                                     // 000000002DE0: 82191980
	s_lshr_b32 s60, s69, s88                                   // 000000002DE4: 8F3C5845
	s_mul_i32 s60, s4, s60                                     // 000000002DE8: 923C3C04
	s_add_u32 s20, s60, s20                                    // 000000002DEC: 8014143C
	s_addc_u32 s21, 0, s21                                     // 000000002DF0: 82151580
	s_mul_i32 s60, s7, 16                                      // 000000002DF4: 923C9007
	s_mul_i32 s60, s60, s69                                    // 000000002DF8: 923C453C
	v_lshlrev_b32_e32 v46, 4, v0                               // 000000002DFC: 245C0084
	v_add_u32_e32 v46, s60, v46                                // 000000002E00: 685C5C3C
	s_mul_i32 s60, 64, s69                                     // 000000002E04: 923C45C0
	s_mov_b32 s84, s24                                         // 000000002E08: BED40018
	s_mov_b32 s85, s25                                         // 000000002E0C: BED50019
	s_mov_b32 s86, s26                                         // 000000002E10: BED6001A
	s_mov_b32 s87, s27                                         // 000000002E14: BED7001B
	s_mul_i32 s60, s69, s65                                    // 000000002E18: 923C4145
	s_add_u32 s84, s60, s84                                    // 000000002E1C: 8054543C
	s_addc_u32 s85, 0, s85                                     // 000000002E20: 82555580
	v_lshrrev_b32_e32 v4, 4, v0                                // 000000002E24: 20080084
	v_lshlrev_b32_e32 v5, 2, v4                                // 000000002E28: 240A0882
	v_and_b32_e32 v4, 15, v0                                   // 000000002E2C: 2608008F
	v_lshrrev_b32_e32 v6, 2, v4                                // 000000002E30: 200C0882
	v_lshlrev_b32_e32 v6, 6, v6                                // 000000002E34: 240C0C86
	v_add_u32_e32 v5, v6, v5                                   // 000000002E38: 680A0B06
	v_and_b32_e32 v4, 3, v0                                    // 000000002E3C: 26080083
	v_add_u32_e32 v5, v4, v5                                   // 000000002E40: 680A0B04
	v_lshlrev_b32_e32 v22, 2, v5                               // 000000002E44: 242C0A82
	s_mul_i32 s60, s7, 16                                      // 000000002E48: 923C9007
	s_mul_i32 s60, s60, 4                                      // 000000002E4C: 923C843C
	v_add_u32_e32 v22, s60, v22                                // 000000002E50: 682C2C3C
	s_mul_i32 s60, s2, 64                                      // 000000002E54: 923CC002
	s_mul_i32 s60, s60, 4                                      // 000000002E58: 923C843C
	s_mul_i32 s61, s5, s74                                     // 000000002E5C: 923D4A05
	s_add_u32 s61, s61, s60                                    // 000000002E60: 803D3C3D
	s_add_u32 s32, s61, s32                                    // 000000002E64: 8020203D
	s_addc_u32 s33, 0, s33                                     // 000000002E68: 82212180
	s_mov_b32 s57, 0x80                                        // 000000002E6C: BEB900FF 00000080
	s_mov_b32 s58, 0x800                                       // 000000002E74: BEBA00FF 00000800
	s_mov_b32 s83, s58                                         // 000000002E7C: BED3003A
	s_mov_b32 s52, 0x7060302                                   // 000000002E80: BEB400FF 07060302
	s_mov_b32 s53, 0x400                                       // 000000002E88: BEB500FF 00000400
	s_mov_b32 s54, 0x40100                                     // 000000002E90: BEB600FF 00040100
	s_mov_b32 s55, 0x4020100                                   // 000000002E98: BEB700FF 04020100
	s_mov_b32 s6, 0x3fb8aa3b                                   // 000000002EA0: BE8600FF 3FB8AA3B
	s_mov_b32 s78, 0xbd92220c                                  // 000000002EA8: BECE00FF BD92220C
	s_mov_b32 s79, 0xbd92220c                                  // 000000002EB0: BECF00FF BD92220C
	s_mov_b32 m0, s48                                          // 000000002EB8: BEFC0030
	v_mov_b32_e32 v1, 0xbfcc4231                               // 000000002EBC: 7E0202FF BFCC4231
	v_mov_b32_e32 v17, 0xffff0000                              // 000000002EC4: 7E2202FF FFFF0000
	v_mov_b32_e32 v18, 0x7fff0000                              // 000000002ECC: 7E2402FF 7FFF0000
	v_mov_b32_e32 v19, 0x7fff                                  // 000000002ED4: 7E2602FF 00007FFF
	s_waitcnt vmcnt(0) expcnt(0) lgkmcnt(0)                    // 000000002EDC: BF8C0000
	s_mul_i32 s60, s3, 48                                      // 000000002EE0: 923CB003
	s_mul_i32 s60, 4, s60                                      // 000000002EE4: 923C3C84
	s_add_u32 s40, s60, s40                                    // 000000002EE8: 8028283C
	s_addc_u32 s41, 0, s41                                     // 000000002EEC: 82292980
	v_and_b32_e32 v4, 15, v0                                   // 000000002EF0: 2608008F
	v_lshlrev_b32_e32 v4, 2, v4                                // 000000002EF4: 24080882
	buffer_load_dword v72, v4, s[40:43], 0 offen               // 000000002EF8: E0501000 800A4804
	buffer_load_dword v73, v4, s[40:43], 0 offen offset:64     // 000000002F00: E0501040 800A4904
	buffer_load_dword v74, v4, s[40:43], 0 offen offset:128    // 000000002F08: E0501080 800A4A04
	v_lshrrev_b32_e32 v4, 5, v0                                // 000000002F10: 20080085
	v_xor_b32_e32 v5, 1, v4                                    // 000000002F14: 2A0A0881
	v_readlane_b32 s82, v3, 0                                  // 000000002F18: D2890052 00010103
	s_and_b32 s82, s82, 0xffffff                               // 000000002F20: 8652FF52 00FFFFFF
	v_mul_lo_u32 v6, v5, s82                                   // 000000002F28: D2850006 0000A505
	v_readlane_b32 s82, v3, 1                                  // 000000002F30: D2890052 00010303
	s_and_b32 s82, s82, 0xffffff                               // 000000002F38: 8652FF52 00FFFFFF
	v_mul_lo_u32 v7, v4, s82                                   // 000000002F40: D2850007 0000A504
	v_add_u32_e32 v40, v6, v7                                  // 000000002F48: 68500F06
	v_mul_lo_u32 v40, v40, s68                                 // 000000002F4C: D2850028 00008928
	v_readlane_b32 s82, v3, 2                                  // 000000002F54: D2890052 00010503
	s_and_b32 s82, s82, 0xffffff                               // 000000002F5C: 8652FF52 00FFFFFF
	v_mul_lo_u32 v6, v5, s82                                   // 000000002F64: D2850006 0000A505
	v_readlane_b32 s82, v3, 3                                  // 000000002F6C: D2890052 00010703
	s_and_b32 s82, s82, 0xffffff                               // 000000002F74: 8652FF52 00FFFFFF
	v_mul_lo_u32 v7, v4, s82                                   // 000000002F7C: D2850007 0000A504
	v_add_u32_e32 v41, v6, v7                                  // 000000002F84: 68520F06
	v_mul_lo_u32 v41, v41, s68                                 // 000000002F88: D2850029 00008929
	v_readlane_b32 s82, v3, 4                                  // 000000002F90: D2890052 00010903
	s_and_b32 s82, s82, 0xffffff                               // 000000002F98: 8652FF52 00FFFFFF
	v_mul_lo_u32 v6, v5, s82                                   // 000000002FA0: D2850006 0000A505
	v_readlane_b32 s82, v3, 5                                  // 000000002FA8: D2890052 00010B03
	s_and_b32 s82, s82, 0xffffff                               // 000000002FB0: 8652FF52 00FFFFFF
	v_mul_lo_u32 v7, v4, s82                                   // 000000002FB8: D2850007 0000A504
	v_add_u32_e32 v42, v6, v7                                  // 000000002FC0: 68540F06
	v_mul_lo_u32 v42, v42, s68                                 // 000000002FC4: D285002A 0000892A
	v_readlane_b32 s82, v3, 6                                  // 000000002FCC: D2890052 00010D03
	s_and_b32 s82, s82, 0xffffff                               // 000000002FD4: 8652FF52 00FFFFFF
	v_mul_lo_u32 v6, v5, s82                                   // 000000002FDC: D2850006 0000A505
	v_readlane_b32 s82, v3, 7                                  // 000000002FE4: D2890052 00010F03
	s_and_b32 s82, s82, 0xffffff                               // 000000002FEC: 8652FF52 00FFFFFF
	v_mul_lo_u32 v7, v4, s82                                   // 000000002FF4: D2850007 0000A504
	v_add_u32_e32 v43, v6, v7                                  // 000000002FFC: 68560F06
	v_mul_lo_u32 v43, v43, s68                                 // 000000003000: D285002B 0000892B
	v_readlane_b32 s82, v3, 8                                  // 000000003008: D2890052 00011103
	s_and_b32 s82, s82, 0xffffff                               // 000000003010: 8652FF52 00FFFFFF
	v_mul_lo_u32 v6, v5, s82                                   // 000000003018: D2850006 0000A505
	v_readlane_b32 s82, v3, 9                                  // 000000003020: D2890052 00011303
	s_and_b32 s82, s82, 0xffffff                               // 000000003028: 8652FF52 00FFFFFF
	v_mul_lo_u32 v7, v4, s82                                   // 000000003030: D2850007 0000A504
	v_add_u32_e32 v44, v6, v7                                  // 000000003038: 68580F06
	v_mul_lo_u32 v44, v44, s68                                 // 00000000303C: D285002C 0000892C
	v_readlane_b32 s82, v3, 10                                 // 000000003044: D2890052 00011503
	s_and_b32 s82, s82, 0xffffff                               // 00000000304C: 8652FF52 00FFFFFF
	v_mul_lo_u32 v6, v5, s82                                   // 000000003054: D2850006 0000A505
	v_readlane_b32 s82, v3, 11                                 // 00000000305C: D2890052 00011703
	s_and_b32 s82, s82, 0xffffff                               // 000000003064: 8652FF52 00FFFFFF
	v_mul_lo_u32 v7, v4, s82                                   // 00000000306C: D2850007 0000A504
	v_add_u32_e32 v45, v6, v7                                  // 000000003074: 685A0F06
	v_mul_lo_u32 v45, v45, s68                                 // 000000003078: D285002D 0000892D
	v_and_b32_e32 v4, 31, v0                                   // 000000003080: 2608009F
	v_lshlrev_b32_e32 v4, 2, v4                                // 000000003084: 24080882
	v_add_u32_e32 v40, v40, v4                                 // 000000003088: 68500928
	v_add_u32_e32 v41, v41, v4                                 // 00000000308C: 68520929
	v_add_u32_e32 v42, v42, v4                                 // 000000003090: 6854092A
	v_add_u32_e32 v43, v43, v4                                 // 000000003094: 6856092B
	v_add_u32_e32 v44, v44, v4                                 // 000000003098: 6858092C
	v_add_u32_e32 v45, v45, v4                                 // 00000000309C: 685A092D
	v_and_b32_e32 v28, 0xffffff, v28                           // 0000000030A0: 263838FF 00FFFFFF
	v_lshlrev_b32_e32 v28, 2, v28                              // 0000000030A8: 24383882
	v_and_b32_e32 v29, 0xffffff, v29                           // 0000000030AC: 263A3AFF 00FFFFFF
	v_lshlrev_b32_e32 v29, 2, v29                              // 0000000030B4: 243A3A82
	v_and_b32_e32 v30, 0xffffff, v30                           // 0000000030B8: 263C3CFF 00FFFFFF
	v_lshlrev_b32_e32 v30, 2, v30                              // 0000000030C0: 243C3C82
	s_lshl_b32 s3, s66, 2                                      // 0000000030C4: 8E038242
	buffer_load_dword v31, v28, s[28:31], 0 offen              // 0000000030C8: E0501000 80071F1C
	buffer_load_dword v32, v29, s[28:31], 0 offen              // 0000000030D0: E0501000 8007201D
	buffer_load_dword v33, v30, s[28:31], 0 offen              // 0000000030D8: E0501000 8007211E
	buffer_load_dword v24, v22, s[32:35], 0 offen              // 0000000030E0: E0501000 80081816
	s_mul_i32 s60, 4, s65                                      // 0000000030E8: 923C4184
	s_add_u32 s32, s60, s32                                    // 0000000030EC: 8020203C
	s_addc_u32 s33, 0, s33                                     // 0000000030F0: 82212180
	buffer_load_dword v26, v22, s[32:35], 0 offen              // 0000000030F4: E0501000 80081A16
	buffer_load_dword v40, s[20:23], 0 offen lds               // 0000000030FC: E0511000 80050028
	s_add_u32 m0, 0x100, s48                                   // 000000003104: 807C30FF 00000100
	buffer_load_dword v41, s[20:23], 0 offen lds               // 00000000310C: E0511000 80050029
	s_add_u32 m0, 0x200, s48                                   // 000000003114: 807C30FF 00000200
	buffer_load_dword v42, s[20:23], 0 offen lds               // 00000000311C: E0511000 8005002A
	s_add_u32 m0, 0x300, s48                                   // 000000003124: 807C30FF 00000300
	buffer_load_dword v43, s[20:23], 0 offen lds               // 00000000312C: E0511000 8005002B
	s_add_u32 m0, 0x400, s48                                   // 000000003134: 807C30FF 00000400
	buffer_load_dword v44, s[20:23], 0 offen lds               // 00000000313C: E0511000 8005002C
	s_add_u32 m0, 0x500, s48                                   // 000000003144: 807C30FF 00000500
	buffer_load_dword v45, s[20:23], 0 offen lds               // 00000000314C: E0511000 8005002D
	s_add_u32 m0, 0, s49                                       // 000000003154: 807C3180
	s_add_u32 s20, s57, s20                                    // 000000003158: 80141439
	s_addc_u32 s21, 0, s21                                     // 00000000315C: 82151580
	buffer_load_dword v40, s[20:23], 0 offen lds               // 000000003160: E0511000 80050028
	s_add_u32 m0, 0x100, s49                                   // 000000003168: 807C31FF 00000100
	buffer_load_dword v41, s[20:23], 0 offen lds               // 000000003170: E0511000 80050029
	s_add_u32 m0, 0x200, s49                                   // 000000003178: 807C31FF 00000200
	buffer_load_dword v42, s[20:23], 0 offen lds               // 000000003180: E0511000 8005002A
	s_add_u32 m0, 0x300, s49                                   // 000000003188: 807C31FF 00000300
	buffer_load_dword v43, s[20:23], 0 offen lds               // 000000003190: E0511000 8005002B
	s_add_u32 m0, 0x400, s49                                   // 000000003198: 807C31FF 00000400
	buffer_load_dword v44, s[20:23], 0 offen lds               // 0000000031A0: E0511000 8005002C
	s_add_u32 m0, 0x500, s49                                   // 0000000031A8: 807C31FF 00000500
	buffer_load_dword v45, s[20:23], 0 offen lds               // 0000000031B0: E0511000 8005002D
	s_add_u32 m0, 0, s48                                       // 0000000031B8: 807C3080
	s_add_u32 s20, s57, s20                                    // 0000000031BC: 80141439
	s_addc_u32 s21, 0, s21                                     // 0000000031C0: 82151580
	buffer_load_dwordx4 a[48:51], v46, s[24:27], 0 offen       // 0000000031C4: E05C1000 8086302E
	buffer_load_dwordx4 a[52:55], v46, s[24:27], 0 offen offset:1024// 0000000031CC: E05C1400 8086342E
	s_add_u32 s24, s58, s24                                    // 0000000031D4: 8018183A
	s_addc_u32 s25, 0, s25                                     // 0000000031D8: 82191980
	s_waitcnt vmcnt(8)                                         // 0000000031DC: BF8C0F78
	s_barrier                                                  // 0000000031E0: BF8A0000
	ds_read_b128 a[0:3], v2                                    // 0000000031E4: DBFE0000 00000002
	ds_read_b128 a[4:7], v2 offset:64                          // 0000000031EC: DBFE0040 04000002
	ds_read_b128 a[8:11], v2 offset:512                        // 0000000031F4: DBFE0200 08000002
	ds_read_b128 a[12:15], v2 offset:576                       // 0000000031FC: DBFE0240 0C000002
	ds_read_b128 a[16:19], v2 offset:1024                      // 000000003204: DBFE0400 10000002
	ds_read_b128 a[20:23], v2 offset:1088                      // 00000000320C: DBFE0440 14000002
	s_cmp_lt_i32 s7, 2                                         // 000000003214: BF048207
	s_cbranch_scc0 label_0839                                  // 000000003218: BF84062F

000000000000321c <label_0207>:
	s_waitcnt vmcnt(0) lgkmcnt(0)                              // 00000000321C: BF8C0070
	s_barrier                                                  // 000000003220: BF8A0000
	v_mfma_f32_16x16x32_fp8_fp8 v[48:51], a[48:49], a[0:1], v[48:51]// 000000003224: D3F30030 1CC20130
	v_mfma_f32_16x16x32_fp8_fp8 v[48:51], a[50:51], a[2:3], v[48:51]// 00000000322C: D3F30030 1CC20532
	buffer_load_dwordx4 a[56:59], v46, s[84:87], 0 offen       // 000000003234: E05C1000 8095382E
	v_mfma_f32_16x16x32_fp8_fp8 v[48:51], a[52:53], a[4:5], v[48:51]// 00000000323C: D3F30030 1CC20934
	v_mfma_f32_16x16x32_fp8_fp8 v[48:51], a[54:55], a[6:7], v[48:51]// 000000003244: D3F30030 1CC20D36
	v_mfma_f32_16x16x32_fp8_fp8 v[52:55], a[48:49], a[8:9], v[52:55]// 00000000324C: D3F30034 1CD21130
	v_mfma_f32_16x16x32_fp8_fp8 v[52:55], a[50:51], a[10:11], v[52:55]// 000000003254: D3F30034 1CD21532
	buffer_load_dwordx4 a[60:63], v46, s[84:87], 0 offen offset:1024// 00000000325C: E05C1400 80953C2E
	buffer_load_dword v40, s[20:23], 0 offen lds               // 000000003264: E0511000 80050028
	s_add_u32 m0, 0x100, s48                                   // 00000000326C: 807C30FF 00000100
	v_mfma_f32_16x16x32_fp8_fp8 v[52:55], a[52:53], a[12:13], v[52:55]// 000000003274: D3F30034 1CD21934
	v_mfma_f32_16x16x32_fp8_fp8 v[52:55], a[54:55], a[14:15], v[52:55]// 00000000327C: D3F30034 1CD21D36
	buffer_load_dword v41, s[20:23], 0 offen lds               // 000000003284: E0511000 80050029
	s_add_u32 m0, 0x200, s48                                   // 00000000328C: 807C30FF 00000200
	v_mfma_f32_16x16x32_fp8_fp8 v[56:59], a[48:49], a[16:17], v[56:59]// 000000003294: D3F30038 1CE22130
	v_mfma_f32_16x16x32_fp8_fp8 v[56:59], a[50:51], a[18:19], v[56:59]// 00000000329C: D3F30038 1CE22532
	buffer_load_dword v42, s[20:23], 0 offen lds               // 0000000032A4: E0511000 8005002A
	s_add_u32 m0, 0x300, s48                                   // 0000000032AC: 807C30FF 00000300
	s_add_u32 s60, 0x80, s80                                   // 0000000032B4: 803C50FF 00000080
	s_cmp_lt_u32 s60, s81                                      // 0000000032BC: BF0A513C
	s_cselect_b32 s83, s83, 0                                  // 0000000032C0: 85538053
	v_mfma_f32_16x16x32_fp8_fp8 v[56:59], a[52:53], a[20:21], v[56:59]// 0000000032C4: D3F30038 1CE22934
	v_mfma_f32_16x16x32_fp8_fp8 v[56:59], a[54:55], a[22:23], v[56:59]// 0000000032CC: D3F30038 1CE22D36
	buffer_load_dword v43, s[20:23], 0 offen lds               // 0000000032D4: E0511000 8005002B
	s_add_u32 m0, 0x400, s48                                   // 0000000032DC: 807C30FF 00000400
	buffer_load_dword v44, s[20:23], 0 offen lds               // 0000000032E4: E0511000 8005002C
	s_add_u32 m0, 0x500, s48                                   // 0000000032EC: 807C30FF 00000500
	buffer_load_dword v45, s[20:23], 0 offen lds               // 0000000032F4: E0511000 8005002D
	s_add_u32 m0, 0, s49                                       // 0000000032FC: 807C3180
	s_waitcnt vmcnt(6)                                         // 000000003300: BF8C0F76
	v_mfma_f32_16x16x32_fp8_fp8 v[60:63], a[56:57], a[0:1], v[60:63]// 000000003304: D3F3003C 1CF20138
	v_mfma_f32_16x16x32_fp8_fp8 v[60:63], a[58:59], a[2:3], v[60:63]// 00000000330C: D3F3003C 1CF2053A
	buffer_load_dwordx4 a[48:51], v46, s[24:27], 0 offen       // 000000003314: E05C1000 8086302E
	v_mfma_f32_16x16x32_fp8_fp8 v[60:63], a[60:61], a[4:5], v[60:63]// 00000000331C: D3F3003C 1CF2093C
	v_mfma_f32_16x16x32_fp8_fp8 v[60:63], a[62:63], a[6:7], v[60:63]// 000000003324: D3F3003C 1CF20D3E
	ds_read_b128 a[24:27], v2 offset:6272                      // 00000000332C: DBFE1880 18000002
	ds_read_b128 a[28:31], v2 offset:6336                      // 000000003334: DBFE18C0 1C000002
	v_mfma_f32_16x16x32_fp8_fp8 v[64:67], a[56:57], a[8:9], v[64:67]// 00000000333C: D3F30040 1D021138
	v_mfma_f32_16x16x32_fp8_fp8 v[64:67], a[58:59], a[10:11], v[64:67]// 000000003344: D3F30040 1D02153A
	buffer_load_dwordx4 a[52:55], v46, s[24:27], 0 offen offset:1024// 00000000334C: E05C1400 8086342E
	v_mfma_f32_16x16x32_fp8_fp8 v[64:67], a[60:61], a[12:13], v[64:67]// 000000003354: D3F30040 1D02193C
	s_add_u32 s60, 0x180, s80                                  // 00000000335C: 803C50FF 00000180
	s_cmp_lt_u32 s60, s81                                      // 000000003364: BF0A513C
	s_cselect_b32 s57, s57, 0                                  // 000000003368: 85398039
	v_mfma_f32_16x16x32_fp8_fp8 v[64:67], a[62:63], a[14:15], v[64:67]// 00000000336C: D3F30040 1D021D3E
	ds_read_b128 a[32:35], v2 offset:6784                      // 000000003374: DBFE1A80 20000002
	ds_read_b128 a[36:39], v2 offset:6848                      // 00000000337C: DBFE1AC0 24000002
	s_add_u32 s60, 0x100, s80                                  // 000000003384: 803C50FF 00000100
	s_cmp_lt_u32 s60, s81                                      // 00000000338C: BF0A513C
	s_cselect_b32 s58, s58, 0                                  // 000000003390: 853A803A
	v_mfma_f32_16x16x32_fp8_fp8 v[68:71], a[56:57], a[16:17], v[68:71]// 000000003394: D3F30044 1D122138
	s_add_u32 s24, s58, s24                                    // 00000000339C: 8018183A
	s_addc_u32 s25, 0, s25                                     // 0000000033A0: 82191980
	v_mfma_f32_16x16x32_fp8_fp8 v[68:71], a[58:59], a[18:19], v[68:71]// 0000000033A4: D3F30044 1D12253A
	s_add_u32 s20, s57, s20                                    // 0000000033AC: 80141439
	s_addc_u32 s21, 0, s21                                     // 0000000033B0: 82151580
	v_mfma_f32_16x16x32_fp8_fp8 v[68:71], a[60:61], a[20:21], v[68:71]// 0000000033B4: D3F30044 1D12293C
	s_add_u32 s84, s83, s84                                    // 0000000033BC: 80545453
	s_addc_u32 s85, 0, s85                                     // 0000000033C0: 82555580
	v_mfma_f32_16x16x32_fp8_fp8 v[68:71], a[62:63], a[22:23], v[68:71]// 0000000033C4: D3F30044 1D122D3E
	ds_read_b128 a[40:43], v2 offset:7296                      // 0000000033CC: DBFE1C80 28000002
	ds_read_b128 a[44:47], v2 offset:7360                      // 0000000033D4: DBFE1CC0 2C000002
	s_addk_i32 s80, 0x80                                       // 0000000033DC: B7500080
	s_cmp_lt_i32 s80, s81                                      // 0000000033E0: BF045150
	s_cbranch_scc0 label_02EE                                  // 0000000033E4: BF840074
	s_waitcnt vmcnt(0) lgkmcnt(0)                              // 0000000033E8: BF8C0070
	s_barrier                                                  // 0000000033EC: BF8A0000
	v_mfma_f32_16x16x32_fp8_fp8 v[48:51], a[48:49], a[24:25], v[48:51]// 0000000033F0: D3F30030 1CC23130
	v_mfma_f32_16x16x32_fp8_fp8 v[48:51], a[50:51], a[26:27], v[48:51]// 0000000033F8: D3F30030 1CC23532
	buffer_load_dwordx4 a[56:59], v46, s[84:87], 0 offen       // 000000003400: E05C1000 8095382E
	v_mfma_f32_16x16x32_fp8_fp8 v[48:51], a[52:53], a[28:29], v[48:51]// 000000003408: D3F30030 1CC23934
	v_mfma_f32_16x16x32_fp8_fp8 v[48:51], a[54:55], a[30:31], v[48:51]// 000000003410: D3F30030 1CC23D36
	v_mfma_f32_16x16x32_fp8_fp8 v[52:55], a[48:49], a[32:33], v[52:55]// 000000003418: D3F30034 1CD24130
	v_mfma_f32_16x16x32_fp8_fp8 v[52:55], a[50:51], a[34:35], v[52:55]// 000000003420: D3F30034 1CD24532
	buffer_load_dwordx4 a[60:63], v46, s[84:87], 0 offen offset:1024// 000000003428: E05C1400 80953C2E
	buffer_load_dword v40, s[20:23], 0 offen lds               // 000000003430: E0511000 80050028
	s_add_u32 m0, 0x100, s49                                   // 000000003438: 807C31FF 00000100
	v_mfma_f32_16x16x32_fp8_fp8 v[52:55], a[52:53], a[36:37], v[52:55]// 000000003440: D3F30034 1CD24934
	v_mfma_f32_16x16x32_fp8_fp8 v[52:55], a[54:55], a[38:39], v[52:55]// 000000003448: D3F30034 1CD24D36
	buffer_load_dword v41, s[20:23], 0 offen lds               // 000000003450: E0511000 80050029
	s_add_u32 m0, 0x200, s49                                   // 000000003458: 807C31FF 00000200
	v_mfma_f32_16x16x32_fp8_fp8 v[56:59], a[48:49], a[40:41], v[56:59]// 000000003460: D3F30038 1CE25130
	v_mfma_f32_16x16x32_fp8_fp8 v[56:59], a[50:51], a[42:43], v[56:59]// 000000003468: D3F30038 1CE25532
	buffer_load_dword v42, s[20:23], 0 offen lds               // 000000003470: E0511000 8005002A
	s_add_u32 m0, 0x300, s49                                   // 000000003478: 807C31FF 00000300
	s_add_u32 s60, 0x80, s80                                   // 000000003480: 803C50FF 00000080
	s_cmp_lt_u32 s60, s81                                      // 000000003488: BF0A513C
	s_cselect_b32 s83, s83, 0                                  // 00000000348C: 85538053
	v_mfma_f32_16x16x32_fp8_fp8 v[56:59], a[52:53], a[44:45], v[56:59]// 000000003490: D3F30038 1CE25934
	v_mfma_f32_16x16x32_fp8_fp8 v[56:59], a[54:55], a[46:47], v[56:59]// 000000003498: D3F30038 1CE25D36
	buffer_load_dword v43, s[20:23], 0 offen lds               // 0000000034A0: E0511000 8005002B
	s_add_u32 m0, 0x400, s49                                   // 0000000034A8: 807C31FF 00000400
	buffer_load_dword v44, s[20:23], 0 offen lds               // 0000000034B0: E0511000 8005002C
	s_add_u32 m0, 0x500, s49                                   // 0000000034B8: 807C31FF 00000500
	buffer_load_dword v45, s[20:23], 0 offen lds               // 0000000034C0: E0511000 8005002D
	s_add_u32 m0, 0, s48                                       // 0000000034C8: 807C3080
	s_waitcnt vmcnt(6)                                         // 0000000034CC: BF8C0F76
	v_mfma_f32_16x16x32_fp8_fp8 v[60:63], a[56:57], a[24:25], v[60:63]// 0000000034D0: D3F3003C 1CF23138
	v_mfma_f32_16x16x32_fp8_fp8 v[60:63], a[58:59], a[26:27], v[60:63]// 0000000034D8: D3F3003C 1CF2353A
	buffer_load_dwordx4 a[48:51], v46, s[24:27], 0 offen       // 0000000034E0: E05C1000 8086302E
	v_mfma_f32_16x16x32_fp8_fp8 v[60:63], a[60:61], a[28:29], v[60:63]// 0000000034E8: D3F3003C 1CF2393C
	v_mfma_f32_16x16x32_fp8_fp8 v[60:63], a[62:63], a[30:31], v[60:63]// 0000000034F0: D3F3003C 1CF23D3E
	ds_read_b128 a[0:3], v2                                    // 0000000034F8: DBFE0000 00000002
	ds_read_b128 a[4:7], v2 offset:64                          // 000000003500: DBFE0040 04000002
	v_mfma_f32_16x16x32_fp8_fp8 v[64:67], a[56:57], a[32:33], v[64:67]// 000000003508: D3F30040 1D024138
	v_mfma_f32_16x16x32_fp8_fp8 v[64:67], a[58:59], a[34:35], v[64:67]// 000000003510: D3F30040 1D02453A
	buffer_load_dwordx4 a[52:55], v46, s[24:27], 0 offen offset:1024// 000000003518: E05C1400 8086342E
	v_mfma_f32_16x16x32_fp8_fp8 v[64:67], a[60:61], a[36:37], v[64:67]// 000000003520: D3F30040 1D02493C
	s_add_u32 s60, 0x180, s80                                  // 000000003528: 803C50FF 00000180
	s_cmp_lt_u32 s60, s81                                      // 000000003530: BF0A513C
	s_cselect_b32 s57, s57, 0                                  // 000000003534: 85398039
	v_mfma_f32_16x16x32_fp8_fp8 v[64:67], a[62:63], a[38:39], v[64:67]// 000000003538: D3F30040 1D024D3E
	ds_read_b128 a[8:11], v2 offset:512                        // 000000003540: DBFE0200 08000002
	ds_read_b128 a[12:15], v2 offset:576                       // 000000003548: DBFE0240 0C000002
	s_add_u32 s60, 0x100, s80                                  // 000000003550: 803C50FF 00000100
	s_cmp_lt_u32 s60, s81                                      // 000000003558: BF0A513C
	s_cselect_b32 s58, s58, 0                                  // 00000000355C: 853A803A
	v_mfma_f32_16x16x32_fp8_fp8 v[68:71], a[56:57], a[40:41], v[68:71]// 000000003560: D3F30044 1D125138
	s_add_u32 s24, s58, s24                                    // 000000003568: 8018183A
	s_addc_u32 s25, 0, s25                                     // 00000000356C: 82191980
	v_mfma_f32_16x16x32_fp8_fp8 v[68:71], a[58:59], a[42:43], v[68:71]// 000000003570: D3F30044 1D12553A
	s_add_u32 s20, s57, s20                                    // 000000003578: 80141439
	s_addc_u32 s21, 0, s21                                     // 00000000357C: 82151580
	v_mfma_f32_16x16x32_fp8_fp8 v[68:71], a[60:61], a[44:45], v[68:71]// 000000003580: D3F30044 1D12593C
	s_add_u32 s84, s83, s84                                    // 000000003588: 80545453
	s_addc_u32 s85, 0, s85                                     // 00000000358C: 82555580
	v_mfma_f32_16x16x32_fp8_fp8 v[68:71], a[62:63], a[46:47], v[68:71]// 000000003590: D3F30044 1D125D3E
	ds_read_b128 a[16:19], v2 offset:1024                      // 000000003598: DBFE0400 10000002
	ds_read_b128 a[20:23], v2 offset:1088                      // 0000000035A0: DBFE0440 14000002
	s_addk_i32 s80, 0x80                                       // 0000000035A8: B7500080
	s_cmp_lt_i32 s80, s81                                      // 0000000035AC: BF045150
	s_cbranch_scc0 label_02EE                                  // 0000000035B0: BF840001
	s_branch label_0207                                        // 0000000035B4: BF82FF19

00000000000035b8 <label_02EE>:
	v_mul_f32_dpp v48, v24, v48 row_newbcast:0 row_mask:0xf bank_mask:0xf// 0000000035B8: 0A6060FA FF015018
	v_mul_f32_dpp v49, v24, v49 row_newbcast:1 row_mask:0xf bank_mask:0xf// 0000000035C0: 0A6262FA FF015118
	v_mul_f32_dpp v50, v24, v50 row_newbcast:2 row_mask:0xf bank_mask:0xf// 0000000035C8: 0A6464FA FF015218
	v_mul_f32_dpp v51, v24, v51 row_newbcast:3 row_mask:0xf bank_mask:0xf// 0000000035D0: 0A6666FA FF015318
	v_mul_f32_dpp v52, v24, v52 row_newbcast:0 row_mask:0xf bank_mask:0xf// 0000000035D8: 0A6868FA FF015018
	v_mul_f32_dpp v53, v24, v53 row_newbcast:1 row_mask:0xf bank_mask:0xf// 0000000035E0: 0A6A6AFA FF015118
	v_mul_f32_dpp v54, v24, v54 row_newbcast:2 row_mask:0xf bank_mask:0xf// 0000000035E8: 0A6C6CFA FF015218
	v_mul_f32_dpp v55, v24, v55 row_newbcast:3 row_mask:0xf bank_mask:0xf// 0000000035F0: 0A6E6EFA FF015318
	v_mul_f32_dpp v56, v24, v56 row_newbcast:0 row_mask:0xf bank_mask:0xf// 0000000035F8: 0A7070FA FF015018
	v_mul_f32_dpp v57, v24, v57 row_newbcast:1 row_mask:0xf bank_mask:0xf// 000000003600: 0A7272FA FF015118
	v_mul_f32_dpp v58, v24, v58 row_newbcast:2 row_mask:0xf bank_mask:0xf// 000000003608: 0A7474FA FF015218
	v_mul_f32_dpp v59, v24, v59 row_newbcast:3 row_mask:0xf bank_mask:0xf// 000000003610: 0A7676FA FF015318
	v_mul_f32_dpp v60, v26, v60 row_newbcast:0 row_mask:0xf bank_mask:0xf// 000000003618: 0A7878FA FF01501A
	v_mul_f32_dpp v61, v26, v61 row_newbcast:1 row_mask:0xf bank_mask:0xf// 000000003620: 0A7A7AFA FF01511A
	v_mul_f32_dpp v62, v26, v62 row_newbcast:2 row_mask:0xf bank_mask:0xf// 000000003628: 0A7C7CFA FF01521A
	v_mul_f32_dpp v63, v26, v63 row_newbcast:3 row_mask:0xf bank_mask:0xf// 000000003630: 0A7E7EFA FF01531A
	v_mul_f32_dpp v64, v26, v64 row_newbcast:0 row_mask:0xf bank_mask:0xf// 000000003638: 0A8080FA FF01501A
	v_mul_f32_dpp v65, v26, v65 row_newbcast:1 row_mask:0xf bank_mask:0xf// 000000003640: 0A8282FA FF01511A
	v_mul_f32_dpp v66, v26, v66 row_newbcast:2 row_mask:0xf bank_mask:0xf// 000000003648: 0A8484FA FF01521A
	v_mul_f32_dpp v67, v26, v67 row_newbcast:3 row_mask:0xf bank_mask:0xf// 000000003650: 0A8686FA FF01531A
	v_mul_f32_dpp v68, v26, v68 row_newbcast:0 row_mask:0xf bank_mask:0xf// 000000003658: 0A8888FA FF01501A
	v_mul_f32_dpp v69, v26, v69 row_newbcast:1 row_mask:0xf bank_mask:0xf// 000000003660: 0A8A8AFA FF01511A
	v_mul_f32_dpp v70, v26, v70 row_newbcast:2 row_mask:0xf bank_mask:0xf// 000000003668: 0A8C8CFA FF01521A
	v_mul_f32_dpp v71, v26, v71 row_newbcast:3 row_mask:0xf bank_mask:0xf// 000000003670: 0A8E8EFA FF01531A
	v_mul_f32_e32 v31, v31, v72                                // 000000003678: 0A3E911F
	v_mov_b32_e32 v4, v31                                      // 00000000367C: 7E08031F
	v_mov_b32_e32 v5, v4                                       // 000000003680: 7E0A0304
	v_pk_mul_f32 v[48:49], v[4:5], v[48:49]                    // 000000003684: D3B14030 18026104
	v_pk_mul_f32 v[60:61], v[4:5], v[60:61]                    // 00000000368C: D3B1403C 18027904
	v_pk_mul_f32 v[50:51], v[4:5], v[50:51]                    // 000000003694: D3B14032 18026504
	v_pk_mul_f32 v[62:63], v[4:5], v[62:63]                    // 00000000369C: D3B1403E 18027D04
	v_mul_f32_e32 v32, v32, v73                                // 0000000036A4: 0A409320
	v_mov_b32_e32 v4, v32                                      // 0000000036A8: 7E080320
	v_mov_b32_e32 v5, v4                                       // 0000000036AC: 7E0A0304
	v_pk_mul_f32 v[52:53], v[4:5], v[52:53]                    // 0000000036B0: D3B14034 18026904
	v_pk_mul_f32 v[64:65], v[4:5], v[64:65]                    // 0000000036B8: D3B14040 18028104
	v_pk_mul_f32 v[54:55], v[4:5], v[54:55]                    // 0000000036C0: D3B14036 18026D04
	v_pk_mul_f32 v[66:67], v[4:5], v[66:67]                    // 0000000036C8: D3B14042 18028504
	v_mul_f32_e32 v33, v33, v74                                // 0000000036D0: 0A429521
	v_mov_b32_e32 v4, v33                                      // 0000000036D4: 7E080321
	v_mov_b32_e32 v5, v4                                       // 0000000036D8: 7E0A0304
	v_pk_mul_f32 v[56:57], v[4:5], v[56:57]                    // 0000000036DC: D3B14038 18027104
	v_pk_mul_f32 v[68:69], v[4:5], v[68:69]                    // 0000000036E4: D3B14044 18028904
	v_pk_mul_f32 v[58:59], v[4:5], v[58:59]                    // 0000000036EC: D3B1403A 18027504
	v_pk_mul_f32 v[70:71], v[4:5], v[70:71]                    // 0000000036F4: D3B14046 18028D04
	s_cmp_eq_u32 s88, 0                                        // 0000000036FC: BF068058
	s_cbranch_scc0 label_0590                                  // 000000003700: BF84024F
	s_cmp_eq_u32 s89, 0                                        // 000000003704: BF068059
	s_cbranch_scc1 label_03C0                                  // 000000003708: BF85007D
	v_mov_b32_e32 v8, v1                                       // 00000000370C: 7E100301
	v_mov_b32_e32 v9, v1                                       // 000000003710: 7E120301
	s_mov_b32 s60, s6                                          // 000000003714: BEBC0006
	s_mov_b32 s61, s6                                          // 000000003718: BEBD0006
	v_pk_mul_f32 v[4:5], v[48:49], v[48:49]                    // 00000000371C: D3B14004 18026130
	v_pk_mul_f32 v[6:7], v[50:51], v[50:51]                    // 000000003724: D3B14006 18026532
	v_pk_fma_f32 v[4:5], v[4:5], s[78:79], v[8:9]              // 00000000372C: D3B04004 1C209D04
	v_pk_fma_f32 v[6:7], v[6:7], s[78:79], v[8:9]              // 000000003734: D3B04006 1C209D06
	v_pk_mul_f32 v[4:5], v[4:5], v[48:49]                      // 00000000373C: D3B14004 18026104
	v_pk_mul_f32 v[6:7], v[6:7], v[50:51]                      // 000000003744: D3B14006 18026506
	v_pk_mul_f32 v[4:5], v[4:5], s[60:61]                      // 00000000374C: D3B14004 18007904
	v_pk_mul_f32 v[6:7], v[6:7], s[60:61]                      // 000000003754: D3B14006 18007906
	v_exp_f32_e32 v4, v4                                       // 00000000375C: 7E084104
	v_exp_f32_e32 v5, v5                                       // 000000003760: 7E0A4105
	v_exp_f32_e32 v6, v6                                       // 000000003764: 7E0C4106
	v_exp_f32_e32 v7, v7                                       // 000000003768: 7E0E4107
	v_add_f32_e64 v4, v4, 1.0                                  // 00000000376C: D1010004 0001E504
	v_add_f32_e64 v5, v5, 1.0                                  // 000000003774: D1010005 0001E505
	v_add_f32_e64 v6, v6, 1.0                                  // 00000000377C: D1010006 0001E506
	v_add_f32_e64 v7, v7, 1.0                                  // 000000003784: D1010007 0001E507
	v_rcp_f32_e32 v4, v4                                       // 00000000378C: 7E084504
	v_rcp_f32_e32 v5, v5                                       // 000000003790: 7E0A4505
	v_rcp_f32_e32 v6, v6                                       // 000000003794: 7E0C4506
	v_rcp_f32_e32 v7, v7                                       // 000000003798: 7E0E4507
	v_mul_f32_e32 v48, v48, v4                                 // 00000000379C: 0A600930
	v_mul_f32_e32 v49, v49, v5                                 // 0000000037A0: 0A620B31
	v_mul_f32_e32 v50, v50, v6                                 // 0000000037A4: 0A640D32
	v_mul_f32_e32 v51, v51, v7                                 // 0000000037A8: 0A660F33
	v_mul_f32_e32 v48, v48, v60                                // 0000000037AC: 0A607930
	v_mul_f32_e32 v49, v49, v61                                // 0000000037B0: 0A627B31
	v_mul_f32_e32 v50, v50, v62                                // 0000000037B4: 0A647D32
	v_mul_f32_e32 v51, v51, v63                                // 0000000037B8: 0A667F33
	v_pk_mul_f32 v[4:5], v[52:53], v[52:53]                    // 0000000037BC: D3B14004 18026934
	v_pk_mul_f32 v[6:7], v[54:55], v[54:55]                    // 0000000037C4: D3B14006 18026D36
	v_pk_fma_f32 v[4:5], v[4:5], s[78:79], v[8:9]              // 0000000037CC: D3B04004 1C209D04
	v_pk_fma_f32 v[6:7], v[6:7], s[78:79], v[8:9]              // 0000000037D4: D3B04006 1C209D06
	v_pk_mul_f32 v[4:5], v[4:5], v[52:53]                      // 0000000037DC: D3B14004 18026904
	v_pk_mul_f32 v[6:7], v[6:7], v[54:55]                      // 0000000037E4: D3B14006 18026D06
	v_pk_mul_f32 v[4:5], v[4:5], s[60:61]                      // 0000000037EC: D3B14004 18007904
	v_pk_mul_f32 v[6:7], v[6:7], s[60:61]                      // 0000000037F4: D3B14006 18007906
	v_exp_f32_e32 v4, v4                                       // 0000000037FC: 7E084104
	v_exp_f32_e32 v5, v5                                       // 000000003800: 7E0A4105
	v_exp_f32_e32 v6, v6                                       // 000000003804: 7E0C4106
	v_exp_f32_e32 v7, v7                                       // 000000003808: 7E0E4107
	v_add_f32_e64 v4, v4, 1.0                                  // 00000000380C: D1010004 0001E504
	v_add_f32_e64 v5, v5, 1.0                                  // 000000003814: D1010005 0001E505
	v_add_f32_e64 v6, v6, 1.0                                  // 00000000381C: D1010006 0001E506
	v_add_f32_e64 v7, v7, 1.0                                  // 000000003824: D1010007 0001E507
	v_rcp_f32_e32 v4, v4                                       // 00000000382C: 7E084504
	v_rcp_f32_e32 v5, v5                                       // 000000003830: 7E0A4505
	v_rcp_f32_e32 v6, v6                                       // 000000003834: 7E0C4506
	v_rcp_f32_e32 v7, v7                                       // 000000003838: 7E0E4507
	v_mul_f32_e32 v52, v52, v4                                 // 00000000383C: 0A680934
	v_mul_f32_e32 v53, v53, v5                                 // 000000003840: 0A6A0B35
	v_mul_f32_e32 v54, v54, v6                                 // 000000003844: 0A6C0D36
	v_mul_f32_e32 v55, v55, v7                                 // 000000003848: 0A6E0F37
	v_mul_f32_e32 v52, v52, v64                                // 00000000384C: 0A688134
	v_mul_f32_e32 v53, v53, v65                                // 000000003850: 0A6A8335
	v_mul_f32_e32 v54, v54, v66                                // 000000003854: 0A6C8536
	v_mul_f32_e32 v55, v55, v67                                // 000000003858: 0A6E8737
	v_pk_mul_f32 v[4:5], v[56:57], v[56:57]                    // 00000000385C: D3B14004 18027138
	v_pk_mul_f32 v[6:7], v[58:59], v[58:59]                    // 000000003864: D3B14006 1802753A
	v_pk_fma_f32 v[4:5], v[4:5], s[78:79], v[8:9]              // 00000000386C: D3B04004 1C209D04
	v_pk_fma_f32 v[6:7], v[6:7], s[78:79], v[8:9]              // 000000003874: D3B04006 1C209D06
	v_pk_mul_f32 v[4:5], v[4:5], v[56:57]                      // 00000000387C: D3B14004 18027104
	v_pk_mul_f32 v[6:7], v[6:7], v[58:59]                      // 000000003884: D3B14006 18027506
	v_pk_mul_f32 v[4:5], v[4:5], s[60:61]                      // 00000000388C: D3B14004 18007904
	v_pk_mul_f32 v[6:7], v[6:7], s[60:61]                      // 000000003894: D3B14006 18007906
	v_exp_f32_e32 v4, v4                                       // 00000000389C: 7E084104
	v_exp_f32_e32 v5, v5                                       // 0000000038A0: 7E0A4105
	v_exp_f32_e32 v6, v6                                       // 0000000038A4: 7E0C4106
	v_exp_f32_e32 v7, v7                                       // 0000000038A8: 7E0E4107
	v_add_f32_e64 v4, v4, 1.0                                  // 0000000038AC: D1010004 0001E504
	v_add_f32_e64 v5, v5, 1.0                                  // 0000000038B4: D1010005 0001E505
	v_add_f32_e64 v6, v6, 1.0                                  // 0000000038BC: D1010006 0001E506
	v_add_f32_e64 v7, v7, 1.0                                  // 0000000038C4: D1010007 0001E507
	v_rcp_f32_e32 v4, v4                                       // 0000000038CC: 7E084504
	v_rcp_f32_e32 v5, v5                                       // 0000000038D0: 7E0A4505
	v_rcp_f32_e32 v6, v6                                       // 0000000038D4: 7E0C4506
	v_rcp_f32_e32 v7, v7                                       // 0000000038D8: 7E0E4507
	v_mul_f32_e32 v56, v56, v4                                 // 0000000038DC: 0A700938
	v_mul_f32_e32 v57, v57, v5                                 // 0000000038E0: 0A720B39
	v_mul_f32_e32 v58, v58, v6                                 // 0000000038E4: 0A740D3A
	v_mul_f32_e32 v59, v59, v7                                 // 0000000038E8: 0A760F3B
	v_mul_f32_e32 v56, v56, v68                                // 0000000038EC: 0A708938
	v_mul_f32_e32 v57, v57, v69                                // 0000000038F0: 0A728B39
	v_mul_f32_e32 v58, v58, v70                                // 0000000038F4: 0A748D3A
	v_mul_f32_e32 v59, v59, v71                                // 0000000038F8: 0A768F3B
	s_branch label_0420                                        // 0000000038FC: BF820060

0000000000003900 <label_03C0>:
	v_mul_f32_e64 v4, -v48, s6                                 // 000000003900: D1050004 20000D30
	v_mul_f32_e64 v5, -v49, s6                                 // 000000003908: D1050005 20000D31
	v_mul_f32_e64 v6, -v50, s6                                 // 000000003910: D1050006 20000D32
	v_mul_f32_e64 v7, -v51, s6                                 // 000000003918: D1050007 20000D33
	v_exp_f32_e32 v4, v4                                       // 000000003920: 7E084104
	v_exp_f32_e32 v5, v5                                       // 000000003924: 7E0A4105
	v_exp_f32_e32 v6, v6                                       // 000000003928: 7E0C4106
	v_exp_f32_e32 v7, v7                                       // 00000000392C: 7E0E4107
	v_add_f32_e64 v4, v4, 1.0                                  // 000000003930: D1010004 0001E504
	v_add_f32_e64 v5, v5, 1.0                                  // 000000003938: D1010005 0001E505
	v_add_f32_e64 v6, v6, 1.0                                  // 000000003940: D1010006 0001E506
	v_add_f32_e64 v7, v7, 1.0                                  // 000000003948: D1010007 0001E507
	v_rcp_f32_e32 v4, v4                                       // 000000003950: 7E084504
	v_rcp_f32_e32 v5, v5                                       // 000000003954: 7E0A4505
	v_rcp_f32_e32 v6, v6                                       // 000000003958: 7E0C4506
	v_rcp_f32_e32 v7, v7                                       // 00000000395C: 7E0E4507
	v_mul_f32_e32 v48, v48, v4                                 // 000000003960: 0A600930
	v_mul_f32_e32 v49, v49, v5                                 // 000000003964: 0A620B31
	v_mul_f32_e32 v50, v50, v6                                 // 000000003968: 0A640D32
	v_mul_f32_e32 v51, v51, v7                                 // 00000000396C: 0A660F33
	v_mul_f32_e32 v48, v48, v60                                // 000000003970: 0A607930
	v_mul_f32_e32 v49, v49, v61                                // 000000003974: 0A627B31
	v_mul_f32_e32 v50, v50, v62                                // 000000003978: 0A647D32
	v_mul_f32_e32 v51, v51, v63                                // 00000000397C: 0A667F33
	v_mul_f32_e64 v4, -v52, s6                                 // 000000003980: D1050004 20000D34
	v_mul_f32_e64 v5, -v53, s6                                 // 000000003988: D1050005 20000D35
	v_mul_f32_e64 v6, -v54, s6                                 // 000000003990: D1050006 20000D36
	v_mul_f32_e64 v7, -v55, s6                                 // 000000003998: D1050007 20000D37
	v_exp_f32_e32 v4, v4                                       // 0000000039A0: 7E084104
	v_exp_f32_e32 v5, v5                                       // 0000000039A4: 7E0A4105
	v_exp_f32_e32 v6, v6                                       // 0000000039A8: 7E0C4106
	v_exp_f32_e32 v7, v7                                       // 0000000039AC: 7E0E4107
	v_add_f32_e64 v4, v4, 1.0                                  // 0000000039B0: D1010004 0001E504
	v_add_f32_e64 v5, v5, 1.0                                  // 0000000039B8: D1010005 0001E505
	v_add_f32_e64 v6, v6, 1.0                                  // 0000000039C0: D1010006 0001E506
	v_add_f32_e64 v7, v7, 1.0                                  // 0000000039C8: D1010007 0001E507
	v_rcp_f32_e32 v4, v4                                       // 0000000039D0: 7E084504
	v_rcp_f32_e32 v5, v5                                       // 0000000039D4: 7E0A4505
	v_rcp_f32_e32 v6, v6                                       // 0000000039D8: 7E0C4506
	v_rcp_f32_e32 v7, v7                                       // 0000000039DC: 7E0E4507
	v_mul_f32_e32 v52, v52, v4                                 // 0000000039E0: 0A680934
	v_mul_f32_e32 v53, v53, v5                                 // 0000000039E4: 0A6A0B35
	v_mul_f32_e32 v54, v54, v6                                 // 0000000039E8: 0A6C0D36
	v_mul_f32_e32 v55, v55, v7                                 // 0000000039EC: 0A6E0F37
	v_mul_f32_e32 v52, v52, v64                                // 0000000039F0: 0A688134
	v_mul_f32_e32 v53, v53, v65                                // 0000000039F4: 0A6A8335
	v_mul_f32_e32 v54, v54, v66                                // 0000000039F8: 0A6C8536
	v_mul_f32_e32 v55, v55, v67                                // 0000000039FC: 0A6E8737
	v_mul_f32_e64 v4, -v56, s6                                 // 000000003A00: D1050004 20000D38
	v_mul_f32_e64 v5, -v57, s6                                 // 000000003A08: D1050005 20000D39
	v_mul_f32_e64 v6, -v58, s6                                 // 000000003A10: D1050006 20000D3A
	v_mul_f32_e64 v7, -v59, s6                                 // 000000003A18: D1050007 20000D3B
	v_exp_f32_e32 v4, v4                                       // 000000003A20: 7E084104
	v_exp_f32_e32 v5, v5                                       // 000000003A24: 7E0A4105
	v_exp_f32_e32 v6, v6                                       // 000000003A28: 7E0C4106
	v_exp_f32_e32 v7, v7                                       // 000000003A2C: 7E0E4107
	v_add_f32_e64 v4, v4, 1.0                                  // 000000003A30: D1010004 0001E504
	v_add_f32_e64 v5, v5, 1.0                                  // 000000003A38: D1010005 0001E505
	v_add_f32_e64 v6, v6, 1.0                                  // 000000003A40: D1010006 0001E506
	v_add_f32_e64 v7, v7, 1.0                                  // 000000003A48: D1010007 0001E507
	v_rcp_f32_e32 v4, v4                                       // 000000003A50: 7E084504
	v_rcp_f32_e32 v5, v5                                       // 000000003A54: 7E0A4505
	v_rcp_f32_e32 v6, v6                                       // 000000003A58: 7E0C4506
	v_rcp_f32_e32 v7, v7                                       // 000000003A5C: 7E0E4507
	v_mul_f32_e32 v56, v56, v4                                 // 000000003A60: 0A700938
	v_mul_f32_e32 v57, v57, v5                                 // 000000003A64: 0A720B39
	v_mul_f32_e32 v58, v58, v6                                 // 000000003A68: 0A740D3A
	v_mul_f32_e32 v59, v59, v7                                 // 000000003A6C: 0A760F3B
	v_mul_f32_e32 v56, v56, v68                                // 000000003A70: 0A708938
	v_mul_f32_e32 v57, v57, v69                                // 000000003A74: 0A728B39
	v_mul_f32_e32 v58, v58, v70                                // 000000003A78: 0A748D3A
	v_mul_f32_e32 v59, v59, v71                                // 000000003A7C: 0A768F3B

0000000000003a80 <label_0420>:
	v_cmp_u_f32_e64 s[46:47], v48, v48                         // 000000003A80: D048002E 00026130
	v_add3_u32 v16, v48, v19, 1                                // 000000003A88: D1FF0010 02062730
	v_cndmask_b32_e64 v4, v16, v18, s[46:47]                   // 000000003A90: D1000004 00BA2510
	v_cmp_u_f32_e64 s[46:47], v49, v49                         // 000000003A98: D048002E 00026331
	v_add3_u32 v16, v49, v19, 1                                // 000000003AA0: D1FF0010 02062731
	v_cndmask_b32_e64 v5, v16, v18, s[46:47]                   // 000000003AA8: D1000005 00BA2510
	v_perm_b32 v48, v5, v4, s52                                // 000000003AB0: D1ED0030 00D20905
	v_cmp_u_f32_e64 s[46:47], v50, v50                         // 000000003AB8: D048002E 00026532
	v_add3_u32 v16, v50, v19, 1                                // 000000003AC0: D1FF0010 02062732
	v_cndmask_b32_e64 v4, v16, v18, s[46:47]                   // 000000003AC8: D1000004 00BA2510
	v_cmp_u_f32_e64 s[46:47], v51, v51                         // 000000003AD0: D048002E 00026733
	v_add3_u32 v16, v51, v19, 1                                // 000000003AD8: D1FF0010 02062733
	v_cndmask_b32_e64 v5, v16, v18, s[46:47]                   // 000000003AE0: D1000005 00BA2510
	v_perm_b32 v49, v5, v4, s52                                // 000000003AE8: D1ED0031 00D20905
	v_cmp_u_f32_e64 s[46:47], v52, v52                         // 000000003AF0: D048002E 00026934
	v_add3_u32 v16, v52, v19, 1                                // 000000003AF8: D1FF0010 02062734
	v_cndmask_b32_e64 v4, v16, v18, s[46:47]                   // 000000003B00: D1000004 00BA2510
	v_cmp_u_f32_e64 s[46:47], v53, v53                         // 000000003B08: D048002E 00026B35
	v_add3_u32 v16, v53, v19, 1                                // 000000003B10: D1FF0010 02062735
	v_cndmask_b32_e64 v5, v16, v18, s[46:47]                   // 000000003B18: D1000005 00BA2510
	v_perm_b32 v50, v5, v4, s52                                // 000000003B20: D1ED0032 00D20905
	v_cmp_u_f32_e64 s[46:47], v54, v54                         // 000000003B28: D048002E 00026D36
	v_add3_u32 v16, v54, v19, 1                                // 000000003B30: D1FF0010 02062736
	v_cndmask_b32_e64 v4, v16, v18, s[46:47]                   // 000000003B38: D1000004 00BA2510
	v_cmp_u_f32_e64 s[46:47], v55, v55                         // 000000003B40: D048002E 00026F37
	v_add3_u32 v16, v55, v19, 1                                // 000000003B48: D1FF0010 02062737
	v_cndmask_b32_e64 v5, v16, v18, s[46:47]                   // 000000003B50: D1000005 00BA2510
	v_perm_b32 v51, v5, v4, s52                                // 000000003B58: D1ED0033 00D20905
	v_cmp_u_f32_e64 s[46:47], v56, v56                         // 000000003B60: D048002E 00027138
	v_add3_u32 v16, v56, v19, 1                                // 000000003B68: D1FF0010 02062738
	v_cndmask_b32_e64 v4, v16, v18, s[46:47]                   // 000000003B70: D1000004 00BA2510
	v_cmp_u_f32_e64 s[46:47], v57, v57                         // 000000003B78: D048002E 00027339
	v_add3_u32 v16, v57, v19, 1                                // 000000003B80: D1FF0010 02062739
	v_cndmask_b32_e64 v5, v16, v18, s[46:47]                   // 000000003B88: D1000005 00BA2510
	v_perm_b32 v52, v5, v4, s52                                // 000000003B90: D1ED0034 00D20905
	v_cmp_u_f32_e64 s[46:47], v58, v58                         // 000000003B98: D048002E 0002753A
	v_add3_u32 v16, v58, v19, 1                                // 000000003BA0: D1FF0010 0206273A
	v_cndmask_b32_e64 v4, v16, v18, s[46:47]                   // 000000003BA8: D1000004 00BA2510
	v_cmp_u_f32_e64 s[46:47], v59, v59                         // 000000003BB0: D048002E 0002773B
	v_add3_u32 v16, v59, v19, 1                                // 000000003BB8: D1FF0010 0206273B
	v_cndmask_b32_e64 v5, v16, v18, s[46:47]                   // 000000003BC0: D1000005 00BA2510
	v_perm_b32 v53, v5, v4, s52                                // 000000003BC8: D1ED0035 00D20905
	ds_write_b64 v20, v[48:49]                                 // 000000003BD0: D89A0000 00003014
	ds_write_b64 v20, v[50:51] offset:2176                     // 000000003BD8: D89A0880 00003214
	ds_write_b64 v20, v[52:53] offset:4352                     // 000000003BE0: D89A1100 00003414
	v_lshrrev_b32_e32 v4, 5, v0                                // 000000003BE8: 20080085
	v_xor_b32_e32 v5, 1, v4                                    // 000000003BEC: 2A0A0881
	s_mul_i32 s60, s65, 2                                      // 000000003BF0: 923C8241
	s_cmp_eq_u32 s88, 0                                        // 000000003BF4: BF068058
	s_cselect_b32 s61, 1, 4                                    // 000000003BF8: 853D8481
	s_mul_i32 s60, s61, s60                                    // 000000003BFC: 923C3C3D
	v_readlane_b32 s82, v3, 0                                  // 000000003C00: D2890052 00010103
	s_lshr_b32 s61, s82, 24                                    // 000000003C08: 8F3D9852
	s_and_b32 s82, s82, 0xffffff                               // 000000003C0C: 8652FF52 00FFFFFF
	s_mul_i32 s82, s82, s71                                    // 000000003C14: 92524752
	s_mul_i32 s61, s60, s61                                    // 000000003C18: 923D3D3C
	s_add_u32 s82, s82, s61                                    // 000000003C1C: 80523D52
	v_mul_lo_u32 v6, v5, s82                                   // 000000003C20: D2850006 0000A505
	v_readlane_b32 s82, v3, 1                                  // 000000003C28: D2890052 00010303
	s_lshr_b32 s61, s82, 24                                    // 000000003C30: 8F3D9852
	s_and_b32 s82, s82, 0xffffff                               // 000000003C34: 8652FF52 00FFFFFF
	s_mul_i32 s82, s82, s71                                    // 000000003C3C: 92524752
	s_mul_i32 s61, s60, s61                                    // 000000003C40: 923D3D3C
	s_add_u32 s82, s82, s61                                    // 000000003C44: 80523D52
	v_mul_lo_u32 v7, v4, s82                                   // 000000003C48: D2850007 0000A504
	v_add_u32_e32 v40, v6, v7                                  // 000000003C50: 68500F06
	v_readlane_b32 s82, v3, 2                                  // 000000003C54: D2890052 00010503
	s_lshr_b32 s61, s82, 24                                    // 000000003C5C: 8F3D9852
	s_and_b32 s82, s82, 0xffffff                               // 000000003C60: 8652FF52 00FFFFFF
	s_mul_i32 s82, s82, s71                                    // 000000003C68: 92524752
	s_mul_i32 s61, s60, s61                                    // 000000003C6C: 923D3D3C
	s_add_u32 s82, s82, s61                                    // 000000003C70: 80523D52
	v_mul_lo_u32 v6, v5, s82                                   // 000000003C74: D2850006 0000A505
	v_readlane_b32 s82, v3, 3                                  // 000000003C7C: D2890052 00010703
	s_lshr_b32 s61, s82, 24                                    // 000000003C84: 8F3D9852
	s_and_b32 s82, s82, 0xffffff                               // 000000003C88: 8652FF52 00FFFFFF
	s_mul_i32 s82, s82, s71                                    // 000000003C90: 92524752
	s_mul_i32 s61, s60, s61                                    // 000000003C94: 923D3D3C
	s_add_u32 s82, s82, s61                                    // 000000003C98: 80523D52
	v_mul_lo_u32 v7, v4, s82                                   // 000000003C9C: D2850007 0000A504
	v_add_u32_e32 v41, v6, v7                                  // 000000003CA4: 68520F06
	v_readlane_b32 s82, v3, 4                                  // 000000003CA8: D2890052 00010903
	s_lshr_b32 s61, s82, 24                                    // 000000003CB0: 8F3D9852
	s_and_b32 s82, s82, 0xffffff                               // 000000003CB4: 8652FF52 00FFFFFF
	s_mul_i32 s82, s82, s71                                    // 000000003CBC: 92524752
	s_mul_i32 s61, s60, s61                                    // 000000003CC0: 923D3D3C
	s_add_u32 s82, s82, s61                                    // 000000003CC4: 80523D52
	v_mul_lo_u32 v6, v5, s82                                   // 000000003CC8: D2850006 0000A505
	v_readlane_b32 s82, v3, 5                                  // 000000003CD0: D2890052 00010B03
	s_lshr_b32 s61, s82, 24                                    // 000000003CD8: 8F3D9852
	s_and_b32 s82, s82, 0xffffff                               // 000000003CDC: 8652FF52 00FFFFFF
	s_mul_i32 s82, s82, s71                                    // 000000003CE4: 92524752
	s_mul_i32 s61, s60, s61                                    // 000000003CE8: 923D3D3C
	s_add_u32 s82, s82, s61                                    // 000000003CEC: 80523D52
	v_mul_lo_u32 v7, v4, s82                                   // 000000003CF0: D2850007 0000A504
	v_add_u32_e32 v42, v6, v7                                  // 000000003CF8: 68540F06
	v_readlane_b32 s82, v3, 6                                  // 000000003CFC: D2890052 00010D03
	s_lshr_b32 s61, s82, 24                                    // 000000003D04: 8F3D9852
	s_and_b32 s82, s82, 0xffffff                               // 000000003D08: 8652FF52 00FFFFFF
	s_mul_i32 s82, s82, s71                                    // 000000003D10: 92524752
	s_mul_i32 s61, s60, s61                                    // 000000003D14: 923D3D3C
	s_add_u32 s82, s82, s61                                    // 000000003D18: 80523D52
	v_mul_lo_u32 v6, v5, s82                                   // 000000003D1C: D2850006 0000A505
	v_readlane_b32 s82, v3, 7                                  // 000000003D24: D2890052 00010F03
	s_lshr_b32 s61, s82, 24                                    // 000000003D2C: 8F3D9852
	s_and_b32 s82, s82, 0xffffff                               // 000000003D30: 8652FF52 00FFFFFF
	s_mul_i32 s82, s82, s71                                    // 000000003D38: 92524752
	s_mul_i32 s61, s60, s61                                    // 000000003D3C: 923D3D3C
	s_add_u32 s82, s82, s61                                    // 000000003D40: 80523D52
	v_mul_lo_u32 v7, v4, s82                                   // 000000003D44: D2850007 0000A504
	v_add_u32_e32 v43, v6, v7                                  // 000000003D4C: 68560F06
	v_readlane_b32 s82, v3, 8                                  // 000000003D50: D2890052 00011103
	s_lshr_b32 s61, s82, 24                                    // 000000003D58: 8F3D9852
	s_and_b32 s82, s82, 0xffffff                               // 000000003D5C: 8652FF52 00FFFFFF
	s_mul_i32 s82, s82, s71                                    // 000000003D64: 92524752
	s_mul_i32 s61, s60, s61                                    // 000000003D68: 923D3D3C
	s_add_u32 s82, s82, s61                                    // 000000003D6C: 80523D52
	v_mul_lo_u32 v6, v5, s82                                   // 000000003D70: D2850006 0000A505
	v_readlane_b32 s82, v3, 9                                  // 000000003D78: D2890052 00011303
	s_lshr_b32 s61, s82, 24                                    // 000000003D80: 8F3D9852
	s_and_b32 s82, s82, 0xffffff                               // 000000003D84: 8652FF52 00FFFFFF
	s_mul_i32 s82, s82, s71                                    // 000000003D8C: 92524752
	s_mul_i32 s61, s60, s61                                    // 000000003D90: 923D3D3C
	s_add_u32 s82, s82, s61                                    // 000000003D94: 80523D52
	v_mul_lo_u32 v7, v4, s82                                   // 000000003D98: D2850007 0000A504
	v_add_u32_e32 v44, v6, v7                                  // 000000003DA0: 68580F06
	v_readlane_b32 s82, v3, 10                                 // 000000003DA4: D2890052 00011503
	s_lshr_b32 s61, s82, 24                                    // 000000003DAC: 8F3D9852
	s_and_b32 s82, s82, 0xffffff                               // 000000003DB0: 8652FF52 00FFFFFF
	s_mul_i32 s82, s82, s71                                    // 000000003DB8: 92524752
	s_mul_i32 s61, s60, s61                                    // 000000003DBC: 923D3D3C
	s_add_u32 s82, s82, s61                                    // 000000003DC0: 80523D52
	v_mul_lo_u32 v6, v5, s82                                   // 000000003DC4: D2850006 0000A505
	v_readlane_b32 s82, v3, 11                                 // 000000003DCC: D2890052 00011703
	s_lshr_b32 s61, s82, 24                                    // 000000003DD4: 8F3D9852
	s_and_b32 s82, s82, 0xffffff                               // 000000003DD8: 8652FF52 00FFFFFF
	s_mul_i32 s82, s82, s71                                    // 000000003DE0: 92524752
	s_mul_i32 s61, s60, s61                                    // 000000003DE4: 923D3D3C
	s_add_u32 s82, s82, s61                                    // 000000003DE8: 80523D52
	v_mul_lo_u32 v7, v4, s82                                   // 000000003DEC: D2850007 0000A504
	v_add_u32_e32 v45, v6, v7                                  // 000000003DF4: 685A0F06
	v_and_b32_e32 v4, 31, v0                                   // 000000003DF8: 2608009F
	v_lshrrev_b32_e32 v4, 1, v4                                // 000000003DFC: 20080881
	s_cmp_eq_u32 s88, 0                                        // 000000003E00: BF068058
	s_cselect_b32 s61, 2, 4                                    // 000000003E04: 853D8482
	v_mul_lo_u32 v4, v4, s61                                   // 000000003E08: D2850004 00007B04
	v_and_b32_e64 v5, v0, 1                                    // 000000003E10: D1130005 00010300
	v_add_u32_e32 v4, v4, v5                                   // 000000003E18: 68080B04
	v_lshlrev_b32_e32 v4, 2, v4                                // 000000003E1C: 24080882
	v_add_u32_e32 v40, v40, v4                                 // 000000003E20: 68500928
	v_add_u32_e32 v41, v41, v4                                 // 000000003E24: 68520929
	v_add_u32_e32 v42, v42, v4                                 // 000000003E28: 6854092A
	v_add_u32_e32 v43, v43, v4                                 // 000000003E2C: 6856092B
	v_add_u32_e32 v44, v44, v4                                 // 000000003E30: 6858092C
	v_add_u32_e32 v45, v45, v4                                 // 000000003E34: 685A092D
	s_waitcnt lgkmcnt(0)                                       // 000000003E38: BF8CC07F
	s_barrier                                                  // 000000003E3C: BF8A0000
	ds_read_b32 v48, v21                                       // 000000003E40: D86C0000 30000015
	ds_read_b32 v49, v21 offset:64                             // 000000003E48: D86C0040 31000015
	ds_read_b32 v50, v21 offset:2176                           // 000000003E50: D86C0880 32000015
	ds_read_b32 v51, v21 offset:2240                           // 000000003E58: D86C08C0 33000015
	ds_read_b32 v52, v21 offset:4352                           // 000000003E60: D86C1100 34000015
	ds_read_b32 v53, v21 offset:4416                           // 000000003E68: D86C1140 35000015
	s_waitcnt lgkmcnt(0)                                       // 000000003E70: BF8CC07F
	s_mov_b32 s36, -1                                          // 000000003E74: BEA400C1
	s_mov_b32 s37, -1                                          // 000000003E78: BEA500C1
	v_mov_b32_e32 v7, 0                                        // 000000003E7C: 7E0E0280
	s_or_b32 s9, s9, 0x40000                                   // 000000003E80: 8709FF09 00040000
	s_mov_b64 exec, s[36:37]                                   // 000000003E88: BEFE0124
	v_mov_b32_e32 v6, v40                                      // 000000003E8C: 7E0C0328
	s_mov_b64 s[60:61], 0                                      // 000000003E90: BEBC0180
	v_readlane_b32 s82, v3, 0                                  // 000000003E94: D2890052 00010103
	s_and_b32 s82, s82, 0xffffff                               // 000000003E9C: 8652FF52 00FFFFFF
	s_cmp_lt_u32 s82, s66                                      // 000000003EA4: BF0A4252
	s_cselect_b32 s20, s36, s60                                // 000000003EA8: 85143C24
	v_readlane_b32 s82, v3, 1                                  // 000000003EAC: D2890052 00010303
	s_and_b32 s82, s82, 0xffffff                               // 000000003EB4: 8652FF52 00FFFFFF
	s_cmp_lt_u32 s82, s66                                      // 000000003EBC: BF0A4252
	s_cselect_b32 s21, s36, s60                                // 000000003EC0: 85153C24
	s_mov_b64 exec, s[20:21]                                   // 000000003EC4: BEFE0114
	buffer_store_dword v48, v6, s[8:11], 0 offen               // 000000003EC8: E0701000 80023006
	s_mov_b64 exec, s[36:37]                                   // 000000003ED0: BEFE0124
	v_mov_b32_e32 v6, v41                                      // 000000003ED4: 7E0C0329
	s_mov_b64 s[60:61], 0                                      // 000000003ED8: BEBC0180
	v_readlane_b32 s82, v3, 2                                  // 000000003EDC: D2890052 00010503
	s_and_b32 s82, s82, 0xffffff                               // 000000003EE4: 8652FF52 00FFFFFF
	s_cmp_lt_u32 s82, s66                                      // 000000003EEC: BF0A4252
	s_cselect_b32 s20, s36, s60                                // 000000003EF0: 85143C24
	v_readlane_b32 s82, v3, 3                                  // 000000003EF4: D2890052 00010703
	s_and_b32 s82, s82, 0xffffff                               // 000000003EFC: 8652FF52 00FFFFFF
	s_cmp_lt_u32 s82, s66                                      // 000000003F04: BF0A4252
	s_cselect_b32 s21, s36, s60                                // 000000003F08: 85153C24
	s_mov_b64 exec, s[20:21]                                   // 000000003F0C: BEFE0114
	buffer_store_dword v49, v6, s[8:11], 0 offen               // 000000003F10: E0701000 80023106
	s_mov_b64 exec, s[36:37]                                   // 000000003F18: BEFE0124
	v_mov_b32_e32 v6, v42                                      // 000000003F1C: 7E0C032A
	s_mov_b64 s[60:61], 0                                      // 000000003F20: BEBC0180
	v_readlane_b32 s82, v3, 4                                  // 000000003F24: D2890052 00010903
	s_and_b32 s82, s82, 0xffffff                               // 000000003F2C: 8652FF52 00FFFFFF
	s_cmp_lt_u32 s82, s66                                      // 000000003F34: BF0A4252
	s_cselect_b32 s20, s36, s60                                // 000000003F38: 85143C24
	v_readlane_b32 s82, v3, 5                                  // 000000003F3C: D2890052 00010B03
	s_and_b32 s82, s82, 0xffffff                               // 000000003F44: 8652FF52 00FFFFFF
	s_cmp_lt_u32 s82, s66                                      // 000000003F4C: BF0A4252
	s_cselect_b32 s21, s36, s60                                // 000000003F50: 85153C24
	s_mov_b64 exec, s[20:21]                                   // 000000003F54: BEFE0114
	buffer_store_dword v50, v6, s[8:11], 0 offen               // 000000003F58: E0701000 80023206
	s_mov_b64 exec, s[36:37]                                   // 000000003F60: BEFE0124
	v_mov_b32_e32 v6, v43                                      // 000000003F64: 7E0C032B
	s_mov_b64 s[60:61], 0                                      // 000000003F68: BEBC0180
	v_readlane_b32 s82, v3, 6                                  // 000000003F6C: D2890052 00010D03
	s_and_b32 s82, s82, 0xffffff                               // 000000003F74: 8652FF52 00FFFFFF
	s_cmp_lt_u32 s82, s66                                      // 000000003F7C: BF0A4252
	s_cselect_b32 s20, s36, s60                                // 000000003F80: 85143C24
	v_readlane_b32 s82, v3, 7                                  // 000000003F84: D2890052 00010F03
	s_and_b32 s82, s82, 0xffffff                               // 000000003F8C: 8652FF52 00FFFFFF
	s_cmp_lt_u32 s82, s66                                      // 000000003F94: BF0A4252
	s_cselect_b32 s21, s36, s60                                // 000000003F98: 85153C24
	s_mov_b64 exec, s[20:21]                                   // 000000003F9C: BEFE0114
	buffer_store_dword v51, v6, s[8:11], 0 offen               // 000000003FA0: E0701000 80023306
	s_mov_b64 exec, s[36:37]                                   // 000000003FA8: BEFE0124
	v_mov_b32_e32 v6, v44                                      // 000000003FAC: 7E0C032C
	s_mov_b64 s[60:61], 0                                      // 000000003FB0: BEBC0180
	v_readlane_b32 s82, v3, 8                                  // 000000003FB4: D2890052 00011103
	s_and_b32 s82, s82, 0xffffff                               // 000000003FBC: 8652FF52 00FFFFFF
	s_cmp_lt_u32 s82, s66                                      // 000000003FC4: BF0A4252
	s_cselect_b32 s20, s36, s60                                // 000000003FC8: 85143C24
	v_readlane_b32 s82, v3, 9                                  // 000000003FCC: D2890052 00011303
	s_and_b32 s82, s82, 0xffffff                               // 000000003FD4: 8652FF52 00FFFFFF
	s_cmp_lt_u32 s82, s66                                      // 000000003FDC: BF0A4252
	s_cselect_b32 s21, s36, s60                                // 000000003FE0: 85153C24
	s_mov_b64 exec, s[20:21]                                   // 000000003FE4: BEFE0114
	buffer_store_dword v52, v6, s[8:11], 0 offen               // 000000003FE8: E0701000 80023406
	s_mov_b64 exec, s[36:37]                                   // 000000003FF0: BEFE0124
	v_mov_b32_e32 v6, v45                                      // 000000003FF4: 7E0C032D
	s_mov_b64 s[60:61], 0                                      // 000000003FF8: BEBC0180
	v_readlane_b32 s82, v3, 10                                 // 000000003FFC: D2890052 00011503
	s_and_b32 s82, s82, 0xffffff                               // 000000004004: 8652FF52 00FFFFFF
	s_cmp_lt_u32 s82, s66                                      // 00000000400C: BF0A4252
	s_cselect_b32 s20, s36, s60                                // 000000004010: 85143C24
	v_readlane_b32 s82, v3, 11                                 // 000000004014: D2890052 00011703
	s_and_b32 s82, s82, 0xffffff                               // 00000000401C: 8652FF52 00FFFFFF
	s_cmp_lt_u32 s82, s66                                      // 000000004024: BF0A4252
	s_cselect_b32 s21, s36, s60                                // 000000004028: 85153C24
	s_mov_b64 exec, s[20:21]                                   // 00000000402C: BEFE0114
	buffer_store_dword v53, v6, s[8:11], 0 offen               // 000000004030: E0701000 80023506
	s_mov_b64 exec, s[36:37]                                   // 000000004038: BEFE0124
	s_branch label_0E68                                        // 00000000403C: BF8208D5

0000000000004040 <label_0590>:
	ds_write_b64 v20, v[48:49]                                 // 000000004040: D89A0000 00003014
	ds_write_b64 v20, v[52:53] offset:2176                     // 000000004048: D89A0880 00003414
	ds_write_b64 v20, v[56:57] offset:4352                     // 000000004050: D89A1100 00003814
	v_lshrrev_b32_e32 v4, 5, v0                                // 000000004058: 20080085
	v_xor_b32_e32 v5, 1, v4                                    // 00000000405C: 2A0A0881
	s_mul_i32 s60, s65, 2                                      // 000000004060: 923C8241
	s_cmp_eq_u32 s88, 0                                        // 000000004064: BF068058
	s_cselect_b32 s61, 1, 4                                    // 000000004068: 853D8481
	s_mul_i32 s60, s61, s60                                    // 00000000406C: 923C3C3D
	v_readlane_b32 s82, v3, 0                                  // 000000004070: D2890052 00010103
	s_lshr_b32 s61, s82, 24                                    // 000000004078: 8F3D9852
	s_and_b32 s82, s82, 0xffffff                               // 00000000407C: 8652FF52 00FFFFFF
	s_mul_i32 s82, s82, s71                                    // 000000004084: 92524752
	s_mul_i32 s61, s60, s61                                    // 000000004088: 923D3D3C
	s_add_u32 s82, s82, s61                                    // 00000000408C: 80523D52
	v_mul_lo_u32 v6, v5, s82                                   // 000000004090: D2850006 0000A505
	v_readlane_b32 s82, v3, 1                                  // 000000004098: D2890052 00010303
	s_lshr_b32 s61, s82, 24                                    // 0000000040A0: 8F3D9852
	s_and_b32 s82, s82, 0xffffff                               // 0000000040A4: 8652FF52 00FFFFFF
	s_mul_i32 s82, s82, s71                                    // 0000000040AC: 92524752
	s_mul_i32 s61, s60, s61                                    // 0000000040B0: 923D3D3C
	s_add_u32 s82, s82, s61                                    // 0000000040B4: 80523D52
	v_mul_lo_u32 v7, v4, s82                                   // 0000000040B8: D2850007 0000A504
	v_add_u32_e32 v40, v6, v7                                  // 0000000040C0: 68500F06
	v_readlane_b32 s82, v3, 2                                  // 0000000040C4: D2890052 00010503
	s_lshr_b32 s61, s82, 24                                    // 0000000040CC: 8F3D9852
	s_and_b32 s82, s82, 0xffffff                               // 0000000040D0: 8652FF52 00FFFFFF
	s_mul_i32 s82, s82, s71                                    // 0000000040D8: 92524752
	s_mul_i32 s61, s60, s61                                    // 0000000040DC: 923D3D3C
	s_add_u32 s82, s82, s61                                    // 0000000040E0: 80523D52
	v_mul_lo_u32 v6, v5, s82                                   // 0000000040E4: D2850006 0000A505
	v_readlane_b32 s82, v3, 3                                  // 0000000040EC: D2890052 00010703
	s_lshr_b32 s61, s82, 24                                    // 0000000040F4: 8F3D9852
	s_and_b32 s82, s82, 0xffffff                               // 0000000040F8: 8652FF52 00FFFFFF
	s_mul_i32 s82, s82, s71                                    // 000000004100: 92524752
	s_mul_i32 s61, s60, s61                                    // 000000004104: 923D3D3C
	s_add_u32 s82, s82, s61                                    // 000000004108: 80523D52
	v_mul_lo_u32 v7, v4, s82                                   // 00000000410C: D2850007 0000A504
	v_add_u32_e32 v41, v6, v7                                  // 000000004114: 68520F06
	v_readlane_b32 s82, v3, 4                                  // 000000004118: D2890052 00010903
	s_lshr_b32 s61, s82, 24                                    // 000000004120: 8F3D9852
	s_and_b32 s82, s82, 0xffffff                               // 000000004124: 8652FF52 00FFFFFF
	s_mul_i32 s82, s82, s71                                    // 00000000412C: 92524752
	s_mul_i32 s61, s60, s61                                    // 000000004130: 923D3D3C
	s_add_u32 s82, s82, s61                                    // 000000004134: 80523D52
	v_mul_lo_u32 v6, v5, s82                                   // 000000004138: D2850006 0000A505
	v_readlane_b32 s82, v3, 5                                  // 000000004140: D2890052 00010B03
	s_lshr_b32 s61, s82, 24                                    // 000000004148: 8F3D9852
	s_and_b32 s82, s82, 0xffffff                               // 00000000414C: 8652FF52 00FFFFFF
	s_mul_i32 s82, s82, s71                                    // 000000004154: 92524752
	s_mul_i32 s61, s60, s61                                    // 000000004158: 923D3D3C
	s_add_u32 s82, s82, s61                                    // 00000000415C: 80523D52
	v_mul_lo_u32 v7, v4, s82                                   // 000000004160: D2850007 0000A504
	v_add_u32_e32 v42, v6, v7                                  // 000000004168: 68540F06
	v_readlane_b32 s82, v3, 6                                  // 00000000416C: D2890052 00010D03
	s_lshr_b32 s61, s82, 24                                    // 000000004174: 8F3D9852
	s_and_b32 s82, s82, 0xffffff                               // 000000004178: 8652FF52 00FFFFFF
	s_mul_i32 s82, s82, s71                                    // 000000004180: 92524752
	s_mul_i32 s61, s60, s61                                    // 000000004184: 923D3D3C
	s_add_u32 s82, s82, s61                                    // 000000004188: 80523D52
	v_mul_lo_u32 v6, v5, s82                                   // 00000000418C: D2850006 0000A505
	v_readlane_b32 s82, v3, 7                                  // 000000004194: D2890052 00010F03
	s_lshr_b32 s61, s82, 24                                    // 00000000419C: 8F3D9852
	s_and_b32 s82, s82, 0xffffff                               // 0000000041A0: 8652FF52 00FFFFFF
	s_mul_i32 s82, s82, s71                                    // 0000000041A8: 92524752
	s_mul_i32 s61, s60, s61                                    // 0000000041AC: 923D3D3C
	s_add_u32 s82, s82, s61                                    // 0000000041B0: 80523D52
	v_mul_lo_u32 v7, v4, s82                                   // 0000000041B4: D2850007 0000A504
	v_add_u32_e32 v43, v6, v7                                  // 0000000041BC: 68560F06
	v_readlane_b32 s82, v3, 8                                  // 0000000041C0: D2890052 00011103
	s_lshr_b32 s61, s82, 24                                    // 0000000041C8: 8F3D9852
	s_and_b32 s82, s82, 0xffffff                               // 0000000041CC: 8652FF52 00FFFFFF
	s_mul_i32 s82, s82, s71                                    // 0000000041D4: 92524752
	s_mul_i32 s61, s60, s61                                    // 0000000041D8: 923D3D3C
	s_add_u32 s82, s82, s61                                    // 0000000041DC: 80523D52
	v_mul_lo_u32 v6, v5, s82                                   // 0000000041E0: D2850006 0000A505
	v_readlane_b32 s82, v3, 9                                  // 0000000041E8: D2890052 00011303
	s_lshr_b32 s61, s82, 24                                    // 0000000041F0: 8F3D9852
	s_and_b32 s82, s82, 0xffffff                               // 0000000041F4: 8652FF52 00FFFFFF
	s_mul_i32 s82, s82, s71                                    // 0000000041FC: 92524752
	s_mul_i32 s61, s60, s61                                    // 000000004200: 923D3D3C
	s_add_u32 s82, s82, s61                                    // 000000004204: 80523D52
	v_mul_lo_u32 v7, v4, s82                                   // 000000004208: D2850007 0000A504
	v_add_u32_e32 v44, v6, v7                                  // 000000004210: 68580F06
	v_readlane_b32 s82, v3, 10                                 // 000000004214: D2890052 00011503
	s_lshr_b32 s61, s82, 24                                    // 00000000421C: 8F3D9852
	s_and_b32 s82, s82, 0xffffff                               // 000000004220: 8652FF52 00FFFFFF
	s_mul_i32 s82, s82, s71                                    // 000000004228: 92524752
	s_mul_i32 s61, s60, s61                                    // 00000000422C: 923D3D3C
	s_add_u32 s82, s82, s61                                    // 000000004230: 80523D52
	v_mul_lo_u32 v6, v5, s82                                   // 000000004234: D2850006 0000A505
	v_readlane_b32 s82, v3, 11                                 // 00000000423C: D2890052 00011703
	s_lshr_b32 s61, s82, 24                                    // 000000004244: 8F3D9852
	s_and_b32 s82, s82, 0xffffff                               // 000000004248: 8652FF52 00FFFFFF
	s_mul_i32 s82, s82, s71                                    // 000000004250: 92524752
	s_mul_i32 s61, s60, s61                                    // 000000004254: 923D3D3C
	s_add_u32 s82, s82, s61                                    // 000000004258: 80523D52
	v_mul_lo_u32 v7, v4, s82                                   // 00000000425C: D2850007 0000A504
	v_add_u32_e32 v45, v6, v7                                  // 000000004264: 685A0F06
	v_and_b32_e32 v4, 31, v0                                   // 000000004268: 2608009F
	v_lshrrev_b32_e32 v4, 1, v4                                // 00000000426C: 20080881
	s_cmp_eq_u32 s88, 0                                        // 000000004270: BF068058
	s_cselect_b32 s61, 2, 4                                    // 000000004274: 853D8482
	v_mul_lo_u32 v4, v4, s61                                   // 000000004278: D2850004 00007B04
	v_and_b32_e64 v5, v0, 1                                    // 000000004280: D1130005 00010300
	v_add_u32_e32 v4, v4, v5                                   // 000000004288: 68080B04
	v_lshlrev_b32_e32 v4, 2, v4                                // 00000000428C: 24080882
	v_add_u32_e32 v40, v40, v4                                 // 000000004290: 68500928
	v_add_u32_e32 v41, v41, v4                                 // 000000004294: 68520929
	v_add_u32_e32 v42, v42, v4                                 // 000000004298: 6854092A
	v_add_u32_e32 v43, v43, v4                                 // 00000000429C: 6856092B
	v_add_u32_e32 v44, v44, v4                                 // 0000000042A0: 6858092C
	v_add_u32_e32 v45, v45, v4                                 // 0000000042A4: 685A092D
	s_waitcnt lgkmcnt(0)                                       // 0000000042A8: BF8CC07F
	s_barrier                                                  // 0000000042AC: BF8A0000
	ds_read_b32 v48, v21                                       // 0000000042B0: D86C0000 30000015
	ds_read_b32 v49, v21 offset:64                             // 0000000042B8: D86C0040 31000015
	ds_read_b32 v52, v21 offset:2176                           // 0000000042C0: D86C0880 34000015
	ds_read_b32 v53, v21 offset:2240                           // 0000000042C8: D86C08C0 35000015
	ds_read_b32 v56, v21 offset:4352                           // 0000000042D0: D86C1100 38000015
	ds_read_b32 v57, v21 offset:4416                           // 0000000042D8: D86C1140 39000015
	s_waitcnt lgkmcnt(0)                                       // 0000000042E0: BF8CC07F
	s_mov_b32 s36, -1                                          // 0000000042E4: BEA400C1
	s_mov_b32 s37, -1                                          // 0000000042E8: BEA500C1
	v_mov_b32_e32 v7, 0                                        // 0000000042EC: 7E0E0280
	s_mov_b64 exec, s[36:37]                                   // 0000000042F0: BEFE0124
	v_mov_b32_e32 v6, v40                                      // 0000000042F4: 7E0C0328
	s_mov_b64 s[60:61], 0                                      // 0000000042F8: BEBC0180
	v_readlane_b32 s82, v3, 0                                  // 0000000042FC: D2890052 00010103
	s_and_b32 s82, s82, 0xffffff                               // 000000004304: 8652FF52 00FFFFFF
	s_cmp_lt_u32 s82, s66                                      // 00000000430C: BF0A4252
	s_cselect_b32 s20, s36, s60                                // 000000004310: 85143C24
	v_readlane_b32 s82, v3, 1                                  // 000000004314: D2890052 00010303
	s_and_b32 s82, s82, 0xffffff                               // 00000000431C: 8652FF52 00FFFFFF
	s_cmp_lt_u32 s82, s66                                      // 000000004324: BF0A4252
	s_cselect_b32 s21, s36, s60                                // 000000004328: 85153C24
	s_mov_b64 exec, s[20:21]                                   // 00000000432C: BEFE0114
	global_atomic_add_f32 v6, v48, s[8:9]                      // 000000004330: DD348000 00083006
	s_mov_b64 exec, s[36:37]                                   // 000000004338: BEFE0124
	v_mov_b32_e32 v6, v41                                      // 00000000433C: 7E0C0329
	s_mov_b64 s[60:61], 0                                      // 000000004340: BEBC0180
	v_readlane_b32 s82, v3, 2                                  // 000000004344: D2890052 00010503
	s_and_b32 s82, s82, 0xffffff                               // 00000000434C: 8652FF52 00FFFFFF
	s_cmp_lt_u32 s82, s66                                      // 000000004354: BF0A4252
	s_cselect_b32 s20, s36, s60                                // 000000004358: 85143C24
	v_readlane_b32 s82, v3, 3                                  // 00000000435C: D2890052 00010703
	s_and_b32 s82, s82, 0xffffff                               // 000000004364: 8652FF52 00FFFFFF
	s_cmp_lt_u32 s82, s66                                      // 00000000436C: BF0A4252
	s_cselect_b32 s21, s36, s60                                // 000000004370: 85153C24
	s_mov_b64 exec, s[20:21]                                   // 000000004374: BEFE0114
	global_atomic_add_f32 v6, v49, s[8:9]                      // 000000004378: DD348000 00083106
	s_mov_b64 exec, s[36:37]                                   // 000000004380: BEFE0124
	v_mov_b32_e32 v6, v42                                      // 000000004384: 7E0C032A
	s_mov_b64 s[60:61], 0                                      // 000000004388: BEBC0180
	v_readlane_b32 s82, v3, 4                                  // 00000000438C: D2890052 00010903
	s_and_b32 s82, s82, 0xffffff                               // 000000004394: 8652FF52 00FFFFFF
	s_cmp_lt_u32 s82, s66                                      // 00000000439C: BF0A4252
	s_cselect_b32 s20, s36, s60                                // 0000000043A0: 85143C24
	v_readlane_b32 s82, v3, 5                                  // 0000000043A4: D2890052 00010B03
	s_and_b32 s82, s82, 0xffffff                               // 0000000043AC: 8652FF52 00FFFFFF
	s_cmp_lt_u32 s82, s66                                      // 0000000043B4: BF0A4252
	s_cselect_b32 s21, s36, s60                                // 0000000043B8: 85153C24
	s_mov_b64 exec, s[20:21]                                   // 0000000043BC: BEFE0114
	global_atomic_add_f32 v6, v52, s[8:9]                      // 0000000043C0: DD348000 00083406
	s_mov_b64 exec, s[36:37]                                   // 0000000043C8: BEFE0124
	v_mov_b32_e32 v6, v43                                      // 0000000043CC: 7E0C032B
	s_mov_b64 s[60:61], 0                                      // 0000000043D0: BEBC0180
	v_readlane_b32 s82, v3, 6                                  // 0000000043D4: D2890052 00010D03
	s_and_b32 s82, s82, 0xffffff                               // 0000000043DC: 8652FF52 00FFFFFF
	s_cmp_lt_u32 s82, s66                                      // 0000000043E4: BF0A4252
	s_cselect_b32 s20, s36, s60                                // 0000000043E8: 85143C24
	v_readlane_b32 s82, v3, 7                                  // 0000000043EC: D2890052 00010F03
	s_and_b32 s82, s82, 0xffffff                               // 0000000043F4: 8652FF52 00FFFFFF
	s_cmp_lt_u32 s82, s66                                      // 0000000043FC: BF0A4252
	s_cselect_b32 s21, s36, s60                                // 000000004400: 85153C24
	s_mov_b64 exec, s[20:21]                                   // 000000004404: BEFE0114
	global_atomic_add_f32 v6, v53, s[8:9]                      // 000000004408: DD348000 00083506
	s_mov_b64 exec, s[36:37]                                   // 000000004410: BEFE0124
	v_mov_b32_e32 v6, v44                                      // 000000004414: 7E0C032C
	s_mov_b64 s[60:61], 0                                      // 000000004418: BEBC0180
	v_readlane_b32 s82, v3, 8                                  // 00000000441C: D2890052 00011103
	s_and_b32 s82, s82, 0xffffff                               // 000000004424: 8652FF52 00FFFFFF
	s_cmp_lt_u32 s82, s66                                      // 00000000442C: BF0A4252
	s_cselect_b32 s20, s36, s60                                // 000000004430: 85143C24
	v_readlane_b32 s82, v3, 9                                  // 000000004434: D2890052 00011303
	s_and_b32 s82, s82, 0xffffff                               // 00000000443C: 8652FF52 00FFFFFF
	s_cmp_lt_u32 s82, s66                                      // 000000004444: BF0A4252
	s_cselect_b32 s21, s36, s60                                // 000000004448: 85153C24
	s_mov_b64 exec, s[20:21]                                   // 00000000444C: BEFE0114
	global_atomic_add_f32 v6, v56, s[8:9]                      // 000000004450: DD348000 00083806
	s_mov_b64 exec, s[36:37]                                   // 000000004458: BEFE0124
	v_mov_b32_e32 v6, v45                                      // 00000000445C: 7E0C032D
	s_mov_b64 s[60:61], 0                                      // 000000004460: BEBC0180
	v_readlane_b32 s82, v3, 10                                 // 000000004464: D2890052 00011503
	s_and_b32 s82, s82, 0xffffff                               // 00000000446C: 8652FF52 00FFFFFF
	s_cmp_lt_u32 s82, s66                                      // 000000004474: BF0A4252
	s_cselect_b32 s20, s36, s60                                // 000000004478: 85143C24
	v_readlane_b32 s82, v3, 11                                 // 00000000447C: D2890052 00011703
	s_and_b32 s82, s82, 0xffffff                               // 000000004484: 8652FF52 00FFFFFF
	s_cmp_lt_u32 s82, s66                                      // 00000000448C: BF0A4252
	s_cselect_b32 s21, s36, s60                                // 000000004490: 85153C24
	s_mov_b64 exec, s[20:21]                                   // 000000004494: BEFE0114
	global_atomic_add_f32 v6, v57, s[8:9]                      // 000000004498: DD348000 00083906
	s_mov_b64 exec, s[36:37]                                   // 0000000044A0: BEFE0124
	ds_write_b64 v20, v[50:51]                                 // 0000000044A4: D89A0000 00003214
	ds_write_b64 v20, v[54:55] offset:2176                     // 0000000044AC: D89A0880 00003614
	ds_write_b64 v20, v[58:59] offset:4352                     // 0000000044B4: D89A1100 00003A14
	s_waitcnt lgkmcnt(0)                                       // 0000000044BC: BF8CC07F
	s_barrier                                                  // 0000000044C0: BF8A0000
	ds_read_b32 v50, v21                                       // 0000000044C4: D86C0000 32000015
	ds_read_b32 v51, v21 offset:64                             // 0000000044CC: D86C0040 33000015
	ds_read_b32 v54, v21 offset:2176                           // 0000000044D4: D86C0880 36000015
	ds_read_b32 v55, v21 offset:2240                           // 0000000044DC: D86C08C0 37000015
	ds_read_b32 v58, v21 offset:4352                           // 0000000044E4: D86C1100 3A000015
	ds_read_b32 v59, v21 offset:4416                           // 0000000044EC: D86C1140 3B000015
	s_waitcnt lgkmcnt(0)                                       // 0000000044F4: BF8CC07F
	v_mov_b32_e32 v7, 0                                        // 0000000044F8: 7E0E0280
	s_mov_b64 exec, s[36:37]                                   // 0000000044FC: BEFE0124
	v_mov_b32_e32 v6, v40                                      // 000000004500: 7E0C0328
	s_mov_b64 s[60:61], 0                                      // 000000004504: BEBC0180
	v_readlane_b32 s82, v3, 0                                  // 000000004508: D2890052 00010103
	s_and_b32 s82, s82, 0xffffff                               // 000000004510: 8652FF52 00FFFFFF
	s_cmp_lt_u32 s82, s66                                      // 000000004518: BF0A4252
	s_cselect_b32 s20, s36, s60                                // 00000000451C: 85143C24
	v_readlane_b32 s82, v3, 1                                  // 000000004520: D2890052 00010303
	s_and_b32 s82, s82, 0xffffff                               // 000000004528: 8652FF52 00FFFFFF
	s_cmp_lt_u32 s82, s66                                      // 000000004530: BF0A4252
	s_cselect_b32 s21, s36, s60                                // 000000004534: 85153C24
	s_mov_b64 exec, s[20:21]                                   // 000000004538: BEFE0114
	global_atomic_add_f32 v6, v50, s[8:9] offset:8             // 00000000453C: DD348008 00083206
	s_mov_b64 exec, s[36:37]                                   // 000000004544: BEFE0124
	v_mov_b32_e32 v6, v41                                      // 000000004548: 7E0C0329
	s_mov_b64 s[60:61], 0                                      // 00000000454C: BEBC0180
	v_readlane_b32 s82, v3, 2                                  // 000000004550: D2890052 00010503
	s_and_b32 s82, s82, 0xffffff                               // 000000004558: 8652FF52 00FFFFFF
	s_cmp_lt_u32 s82, s66                                      // 000000004560: BF0A4252
	s_cselect_b32 s20, s36, s60                                // 000000004564: 85143C24
	v_readlane_b32 s82, v3, 3                                  // 000000004568: D2890052 00010703
	s_and_b32 s82, s82, 0xffffff                               // 000000004570: 8652FF52 00FFFFFF
	s_cmp_lt_u32 s82, s66                                      // 000000004578: BF0A4252
	s_cselect_b32 s21, s36, s60                                // 00000000457C: 85153C24
	s_mov_b64 exec, s[20:21]                                   // 000000004580: BEFE0114
	global_atomic_add_f32 v6, v51, s[8:9] offset:8             // 000000004584: DD348008 00083306
	s_mov_b64 exec, s[36:37]                                   // 00000000458C: BEFE0124
	v_mov_b32_e32 v6, v42                                      // 000000004590: 7E0C032A
	s_mov_b64 s[60:61], 0                                      // 000000004594: BEBC0180
	v_readlane_b32 s82, v3, 4                                  // 000000004598: D2890052 00010903
	s_and_b32 s82, s82, 0xffffff                               // 0000000045A0: 8652FF52 00FFFFFF
	s_cmp_lt_u32 s82, s66                                      // 0000000045A8: BF0A4252
	s_cselect_b32 s20, s36, s60                                // 0000000045AC: 85143C24
	v_readlane_b32 s82, v3, 5                                  // 0000000045B0: D2890052 00010B03
	s_and_b32 s82, s82, 0xffffff                               // 0000000045B8: 8652FF52 00FFFFFF
	s_cmp_lt_u32 s82, s66                                      // 0000000045C0: BF0A4252
	s_cselect_b32 s21, s36, s60                                // 0000000045C4: 85153C24
	s_mov_b64 exec, s[20:21]                                   // 0000000045C8: BEFE0114
	global_atomic_add_f32 v6, v54, s[8:9] offset:8             // 0000000045CC: DD348008 00083606
	s_mov_b64 exec, s[36:37]                                   // 0000000045D4: BEFE0124
	v_mov_b32_e32 v6, v43                                      // 0000000045D8: 7E0C032B
	s_mov_b64 s[60:61], 0                                      // 0000000045DC: BEBC0180
	v_readlane_b32 s82, v3, 6                                  // 0000000045E0: D2890052 00010D03
	s_and_b32 s82, s82, 0xffffff                               // 0000000045E8: 8652FF52 00FFFFFF
	s_cmp_lt_u32 s82, s66                                      // 0000000045F0: BF0A4252
	s_cselect_b32 s20, s36, s60                                // 0000000045F4: 85143C24
	v_readlane_b32 s82, v3, 7                                  // 0000000045F8: D2890052 00010F03
	s_and_b32 s82, s82, 0xffffff                               // 000000004600: 8652FF52 00FFFFFF
	s_cmp_lt_u32 s82, s66                                      // 000000004608: BF0A4252
	s_cselect_b32 s21, s36, s60                                // 00000000460C: 85153C24
	s_mov_b64 exec, s[20:21]                                   // 000000004610: BEFE0114
	global_atomic_add_f32 v6, v55, s[8:9] offset:8             // 000000004614: DD348008 00083706
	s_mov_b64 exec, s[36:37]                                   // 00000000461C: BEFE0124
	v_mov_b32_e32 v6, v44                                      // 000000004620: 7E0C032C
	s_mov_b64 s[60:61], 0                                      // 000000004624: BEBC0180
	v_readlane_b32 s82, v3, 8                                  // 000000004628: D2890052 00011103
	s_and_b32 s82, s82, 0xffffff                               // 000000004630: 8652FF52 00FFFFFF
	s_cmp_lt_u32 s82, s66                                      // 000000004638: BF0A4252
	s_cselect_b32 s20, s36, s60                                // 00000000463C: 85143C24
	v_readlane_b32 s82, v3, 9                                  // 000000004640: D2890052 00011303
	s_and_b32 s82, s82, 0xffffff                               // 000000004648: 8652FF52 00FFFFFF
	s_cmp_lt_u32 s82, s66                                      // 000000004650: BF0A4252
	s_cselect_b32 s21, s36, s60                                // 000000004654: 85153C24
	s_mov_b64 exec, s[20:21]                                   // 000000004658: BEFE0114
	global_atomic_add_f32 v6, v58, s[8:9] offset:8             // 00000000465C: DD348008 00083A06
	s_mov_b64 exec, s[36:37]                                   // 000000004664: BEFE0124
	v_mov_b32_e32 v6, v45                                      // 000000004668: 7E0C032D
	s_mov_b64 s[60:61], 0                                      // 00000000466C: BEBC0180
	v_readlane_b32 s82, v3, 10                                 // 000000004670: D2890052 00011503
	s_and_b32 s82, s82, 0xffffff                               // 000000004678: 8652FF52 00FFFFFF
	s_cmp_lt_u32 s82, s66                                      // 000000004680: BF0A4252
	s_cselect_b32 s20, s36, s60                                // 000000004684: 85143C24
	v_readlane_b32 s82, v3, 11                                 // 000000004688: D2890052 00011703
	s_and_b32 s82, s82, 0xffffff                               // 000000004690: 8652FF52 00FFFFFF
	s_cmp_lt_u32 s82, s66                                      // 000000004698: BF0A4252
	s_cselect_b32 s21, s36, s60                                // 00000000469C: 85153C24
	s_mov_b64 exec, s[20:21]                                   // 0000000046A0: BEFE0114
	global_atomic_add_f32 v6, v59, s[8:9] offset:8             // 0000000046A4: DD348008 00083B06
	s_mov_b64 exec, s[36:37]                                   // 0000000046AC: BEFE0124
	ds_write_b64 v20, v[60:61]                                 // 0000000046B0: D89A0000 00003C14
	ds_write_b64 v20, v[64:65] offset:2176                     // 0000000046B8: D89A0880 00004014
	ds_write_b64 v20, v[68:69] offset:4352                     // 0000000046C0: D89A1100 00004414
	s_waitcnt lgkmcnt(0)                                       // 0000000046C8: BF8CC07F
	s_barrier                                                  // 0000000046CC: BF8A0000
	ds_read_b32 v60, v21                                       // 0000000046D0: D86C0000 3C000015
	ds_read_b32 v61, v21 offset:64                             // 0000000046D8: D86C0040 3D000015
	ds_read_b32 v64, v21 offset:2176                           // 0000000046E0: D86C0880 40000015
	ds_read_b32 v65, v21 offset:2240                           // 0000000046E8: D86C08C0 41000015
	ds_read_b32 v68, v21 offset:4352                           // 0000000046F0: D86C1100 44000015
	ds_read_b32 v69, v21 offset:4416                           // 0000000046F8: D86C1140 45000015
	s_mul_i32 s60, s65, 4                                      // 000000004700: 923C8441
	s_add_u32 s8, s60, s8                                      // 000000004704: 8008083C
	s_addc_u32 s9, 0, s9                                       // 000000004708: 82090980
	s_waitcnt lgkmcnt(0)                                       // 00000000470C: BF8CC07F
	v_mov_b32_e32 v7, 0                                        // 000000004710: 7E0E0280
	s_mov_b64 exec, s[36:37]                                   // 000000004714: BEFE0124
	v_mov_b32_e32 v6, v40                                      // 000000004718: 7E0C0328
	s_mov_b64 s[60:61], 0                                      // 00000000471C: BEBC0180
	v_readlane_b32 s82, v3, 0                                  // 000000004720: D2890052 00010103
	s_and_b32 s82, s82, 0xffffff                               // 000000004728: 8652FF52 00FFFFFF
	s_cmp_lt_u32 s82, s66                                      // 000000004730: BF0A4252
	s_cselect_b32 s20, s36, s60                                // 000000004734: 85143C24
	v_readlane_b32 s82, v3, 1                                  // 000000004738: D2890052 00010303
	s_and_b32 s82, s82, 0xffffff                               // 000000004740: 8652FF52 00FFFFFF
	s_cmp_lt_u32 s82, s66                                      // 000000004748: BF0A4252
	s_cselect_b32 s21, s36, s60                                // 00000000474C: 85153C24
	s_mov_b64 exec, s[20:21]                                   // 000000004750: BEFE0114
	global_atomic_add_f32 v6, v60, s[8:9]                      // 000000004754: DD348000 00083C06
	s_mov_b64 exec, s[36:37]                                   // 00000000475C: BEFE0124
	v_mov_b32_e32 v6, v41                                      // 000000004760: 7E0C0329
	s_mov_b64 s[60:61], 0                                      // 000000004764: BEBC0180
	v_readlane_b32 s82, v3, 2                                  // 000000004768: D2890052 00010503
	s_and_b32 s82, s82, 0xffffff                               // 000000004770: 8652FF52 00FFFFFF
	s_cmp_lt_u32 s82, s66                                      // 000000004778: BF0A4252
	s_cselect_b32 s20, s36, s60                                // 00000000477C: 85143C24
	v_readlane_b32 s82, v3, 3                                  // 000000004780: D2890052 00010703
	s_and_b32 s82, s82, 0xffffff                               // 000000004788: 8652FF52 00FFFFFF
	s_cmp_lt_u32 s82, s66                                      // 000000004790: BF0A4252
	s_cselect_b32 s21, s36, s60                                // 000000004794: 85153C24
	s_mov_b64 exec, s[20:21]                                   // 000000004798: BEFE0114
	global_atomic_add_f32 v6, v61, s[8:9]                      // 00000000479C: DD348000 00083D06
	s_mov_b64 exec, s[36:37]                                   // 0000000047A4: BEFE0124
	v_mov_b32_e32 v6, v42                                      // 0000000047A8: 7E0C032A
	s_mov_b64 s[60:61], 0                                      // 0000000047AC: BEBC0180
	v_readlane_b32 s82, v3, 4                                  // 0000000047B0: D2890052 00010903
	s_and_b32 s82, s82, 0xffffff                               // 0000000047B8: 8652FF52 00FFFFFF
	s_cmp_lt_u32 s82, s66                                      // 0000000047C0: BF0A4252
	s_cselect_b32 s20, s36, s60                                // 0000000047C4: 85143C24
	v_readlane_b32 s82, v3, 5                                  // 0000000047C8: D2890052 00010B03
	s_and_b32 s82, s82, 0xffffff                               // 0000000047D0: 8652FF52 00FFFFFF
	s_cmp_lt_u32 s82, s66                                      // 0000000047D8: BF0A4252
	s_cselect_b32 s21, s36, s60                                // 0000000047DC: 85153C24
	s_mov_b64 exec, s[20:21]                                   // 0000000047E0: BEFE0114
	global_atomic_add_f32 v6, v64, s[8:9]                      // 0000000047E4: DD348000 00084006
	s_mov_b64 exec, s[36:37]                                   // 0000000047EC: BEFE0124
	v_mov_b32_e32 v6, v43                                      // 0000000047F0: 7E0C032B
	s_mov_b64 s[60:61], 0                                      // 0000000047F4: BEBC0180
	v_readlane_b32 s82, v3, 6                                  // 0000000047F8: D2890052 00010D03
	s_and_b32 s82, s82, 0xffffff                               // 000000004800: 8652FF52 00FFFFFF
	s_cmp_lt_u32 s82, s66                                      // 000000004808: BF0A4252
	s_cselect_b32 s20, s36, s60                                // 00000000480C: 85143C24
	v_readlane_b32 s82, v3, 7                                  // 000000004810: D2890052 00010F03
	s_and_b32 s82, s82, 0xffffff                               // 000000004818: 8652FF52 00FFFFFF
	s_cmp_lt_u32 s82, s66                                      // 000000004820: BF0A4252
	s_cselect_b32 s21, s36, s60                                // 000000004824: 85153C24
	s_mov_b64 exec, s[20:21]                                   // 000000004828: BEFE0114
	global_atomic_add_f32 v6, v65, s[8:9]                      // 00000000482C: DD348000 00084106
	s_mov_b64 exec, s[36:37]                                   // 000000004834: BEFE0124
	v_mov_b32_e32 v6, v44                                      // 000000004838: 7E0C032C
	s_mov_b64 s[60:61], 0                                      // 00000000483C: BEBC0180
	v_readlane_b32 s82, v3, 8                                  // 000000004840: D2890052 00011103
	s_and_b32 s82, s82, 0xffffff                               // 000000004848: 8652FF52 00FFFFFF
	s_cmp_lt_u32 s82, s66                                      // 000000004850: BF0A4252
	s_cselect_b32 s20, s36, s60                                // 000000004854: 85143C24
	v_readlane_b32 s82, v3, 9                                  // 000000004858: D2890052 00011303
	s_and_b32 s82, s82, 0xffffff                               // 000000004860: 8652FF52 00FFFFFF
	s_cmp_lt_u32 s82, s66                                      // 000000004868: BF0A4252
	s_cselect_b32 s21, s36, s60                                // 00000000486C: 85153C24
	s_mov_b64 exec, s[20:21]                                   // 000000004870: BEFE0114
	global_atomic_add_f32 v6, v68, s[8:9]                      // 000000004874: DD348000 00084406
	s_mov_b64 exec, s[36:37]                                   // 00000000487C: BEFE0124
	v_mov_b32_e32 v6, v45                                      // 000000004880: 7E0C032D
	s_mov_b64 s[60:61], 0                                      // 000000004884: BEBC0180
	v_readlane_b32 s82, v3, 10                                 // 000000004888: D2890052 00011503
	s_and_b32 s82, s82, 0xffffff                               // 000000004890: 8652FF52 00FFFFFF
	s_cmp_lt_u32 s82, s66                                      // 000000004898: BF0A4252
	s_cselect_b32 s20, s36, s60                                // 00000000489C: 85143C24
	v_readlane_b32 s82, v3, 11                                 // 0000000048A0: D2890052 00011703
	s_and_b32 s82, s82, 0xffffff                               // 0000000048A8: 8652FF52 00FFFFFF
	s_cmp_lt_u32 s82, s66                                      // 0000000048B0: BF0A4252
	s_cselect_b32 s21, s36, s60                                // 0000000048B4: 85153C24
	s_mov_b64 exec, s[20:21]                                   // 0000000048B8: BEFE0114
	global_atomic_add_f32 v6, v69, s[8:9]                      // 0000000048BC: DD348000 00084506
	s_mov_b64 exec, s[36:37]                                   // 0000000048C4: BEFE0124
	ds_write_b64 v20, v[62:63]                                 // 0000000048C8: D89A0000 00003E14
	ds_write_b64 v20, v[66:67] offset:2176                     // 0000000048D0: D89A0880 00004214
	ds_write_b64 v20, v[70:71] offset:4352                     // 0000000048D8: D89A1100 00004614
	s_waitcnt lgkmcnt(0)                                       // 0000000048E0: BF8CC07F
	s_barrier                                                  // 0000000048E4: BF8A0000
	ds_read_b32 v62, v21                                       // 0000000048E8: D86C0000 3E000015
	ds_read_b32 v63, v21 offset:64                             // 0000000048F0: D86C0040 3F000015
	ds_read_b32 v66, v21 offset:2176                           // 0000000048F8: D86C0880 42000015
	ds_read_b32 v67, v21 offset:2240                           // 000000004900: D86C08C0 43000015
	ds_read_b32 v70, v21 offset:4352                           // 000000004908: D86C1100 46000015
	ds_read_b32 v71, v21 offset:4416                           // 000000004910: D86C1140 47000015
	s_waitcnt lgkmcnt(0)                                       // 000000004918: BF8CC07F
	v_mov_b32_e32 v7, 0                                        // 00000000491C: 7E0E0280
	s_mov_b64 exec, s[36:37]                                   // 000000004920: BEFE0124
	v_mov_b32_e32 v6, v40                                      // 000000004924: 7E0C0328
	s_mov_b64 s[60:61], 0                                      // 000000004928: BEBC0180
	v_readlane_b32 s82, v3, 0                                  // 00000000492C: D2890052 00010103
	s_and_b32 s82, s82, 0xffffff                               // 000000004934: 8652FF52 00FFFFFF
	s_cmp_lt_u32 s82, s66                                      // 00000000493C: BF0A4252
	s_cselect_b32 s20, s36, s60                                // 000000004940: 85143C24
	v_readlane_b32 s82, v3, 1                                  // 000000004944: D2890052 00010303
	s_and_b32 s82, s82, 0xffffff                               // 00000000494C: 8652FF52 00FFFFFF
	s_cmp_lt_u32 s82, s66                                      // 000000004954: BF0A4252
	s_cselect_b32 s21, s36, s60                                // 000000004958: 85153C24
	s_mov_b64 exec, s[20:21]                                   // 00000000495C: BEFE0114
	global_atomic_add_f32 v6, v62, s[8:9] offset:8             // 000000004960: DD348008 00083E06
	s_mov_b64 exec, s[36:37]                                   // 000000004968: BEFE0124
	v_mov_b32_e32 v6, v41                                      // 00000000496C: 7E0C0329
	s_mov_b64 s[60:61], 0                                      // 000000004970: BEBC0180
	v_readlane_b32 s82, v3, 2                                  // 000000004974: D2890052 00010503
	s_and_b32 s82, s82, 0xffffff                               // 00000000497C: 8652FF52 00FFFFFF
	s_cmp_lt_u32 s82, s66                                      // 000000004984: BF0A4252
	s_cselect_b32 s20, s36, s60                                // 000000004988: 85143C24
	v_readlane_b32 s82, v3, 3                                  // 00000000498C: D2890052 00010703
	s_and_b32 s82, s82, 0xffffff                               // 000000004994: 8652FF52 00FFFFFF
	s_cmp_lt_u32 s82, s66                                      // 00000000499C: BF0A4252
	s_cselect_b32 s21, s36, s60                                // 0000000049A0: 85153C24
	s_mov_b64 exec, s[20:21]                                   // 0000000049A4: BEFE0114
	global_atomic_add_f32 v6, v63, s[8:9] offset:8             // 0000000049A8: DD348008 00083F06
	s_mov_b64 exec, s[36:37]                                   // 0000000049B0: BEFE0124
	v_mov_b32_e32 v6, v42                                      // 0000000049B4: 7E0C032A
	s_mov_b64 s[60:61], 0                                      // 0000000049B8: BEBC0180
	v_readlane_b32 s82, v3, 4                                  // 0000000049BC: D2890052 00010903
	s_and_b32 s82, s82, 0xffffff                               // 0000000049C4: 8652FF52 00FFFFFF
	s_cmp_lt_u32 s82, s66                                      // 0000000049CC: BF0A4252
	s_cselect_b32 s20, s36, s60                                // 0000000049D0: 85143C24
	v_readlane_b32 s82, v3, 5                                  // 0000000049D4: D2890052 00010B03
	s_and_b32 s82, s82, 0xffffff                               // 0000000049DC: 8652FF52 00FFFFFF
	s_cmp_lt_u32 s82, s66                                      // 0000000049E4: BF0A4252
	s_cselect_b32 s21, s36, s60                                // 0000000049E8: 85153C24
	s_mov_b64 exec, s[20:21]                                   // 0000000049EC: BEFE0114
	global_atomic_add_f32 v6, v66, s[8:9] offset:8             // 0000000049F0: DD348008 00084206
	s_mov_b64 exec, s[36:37]                                   // 0000000049F8: BEFE0124
	v_mov_b32_e32 v6, v43                                      // 0000000049FC: 7E0C032B
	s_mov_b64 s[60:61], 0                                      // 000000004A00: BEBC0180
	v_readlane_b32 s82, v3, 6                                  // 000000004A04: D2890052 00010D03
	s_and_b32 s82, s82, 0xffffff                               // 000000004A0C: 8652FF52 00FFFFFF
	s_cmp_lt_u32 s82, s66                                      // 000000004A14: BF0A4252
	s_cselect_b32 s20, s36, s60                                // 000000004A18: 85143C24
	v_readlane_b32 s82, v3, 7                                  // 000000004A1C: D2890052 00010F03
	s_and_b32 s82, s82, 0xffffff                               // 000000004A24: 8652FF52 00FFFFFF
	s_cmp_lt_u32 s82, s66                                      // 000000004A2C: BF0A4252
	s_cselect_b32 s21, s36, s60                                // 000000004A30: 85153C24
	s_mov_b64 exec, s[20:21]                                   // 000000004A34: BEFE0114
	global_atomic_add_f32 v6, v67, s[8:9] offset:8             // 000000004A38: DD348008 00084306
	s_mov_b64 exec, s[36:37]                                   // 000000004A40: BEFE0124
	v_mov_b32_e32 v6, v44                                      // 000000004A44: 7E0C032C
	s_mov_b64 s[60:61], 0                                      // 000000004A48: BEBC0180
	v_readlane_b32 s82, v3, 8                                  // 000000004A4C: D2890052 00011103
	s_and_b32 s82, s82, 0xffffff                               // 000000004A54: 8652FF52 00FFFFFF
	s_cmp_lt_u32 s82, s66                                      // 000000004A5C: BF0A4252
	s_cselect_b32 s20, s36, s60                                // 000000004A60: 85143C24
	v_readlane_b32 s82, v3, 9                                  // 000000004A64: D2890052 00011303
	s_and_b32 s82, s82, 0xffffff                               // 000000004A6C: 8652FF52 00FFFFFF
	s_cmp_lt_u32 s82, s66                                      // 000000004A74: BF0A4252
	s_cselect_b32 s21, s36, s60                                // 000000004A78: 85153C24
	s_mov_b64 exec, s[20:21]                                   // 000000004A7C: BEFE0114
	global_atomic_add_f32 v6, v70, s[8:9] offset:8             // 000000004A80: DD348008 00084606
	s_mov_b64 exec, s[36:37]                                   // 000000004A88: BEFE0124
	v_mov_b32_e32 v6, v45                                      // 000000004A8C: 7E0C032D
	s_mov_b64 s[60:61], 0                                      // 000000004A90: BEBC0180
	v_readlane_b32 s82, v3, 10                                 // 000000004A94: D2890052 00011503
	s_and_b32 s82, s82, 0xffffff                               // 000000004A9C: 8652FF52 00FFFFFF
	s_cmp_lt_u32 s82, s66                                      // 000000004AA4: BF0A4252
	s_cselect_b32 s20, s36, s60                                // 000000004AA8: 85143C24
	v_readlane_b32 s82, v3, 11                                 // 000000004AAC: D2890052 00011703
	s_and_b32 s82, s82, 0xffffff                               // 000000004AB4: 8652FF52 00FFFFFF
	s_cmp_lt_u32 s82, s66                                      // 000000004ABC: BF0A4252
	s_cselect_b32 s21, s36, s60                                // 000000004AC0: 85153C24
	s_mov_b64 exec, s[20:21]                                   // 000000004AC4: BEFE0114
	global_atomic_add_f32 v6, v71, s[8:9] offset:8             // 000000004AC8: DD348008 00084706
	s_mov_b64 exec, s[36:37]                                   // 000000004AD0: BEFE0124
	s_branch label_0E68                                        // 000000004AD4: BF82062F

0000000000004ad8 <label_0839>:
	s_waitcnt vmcnt(0) lgkmcnt(0)                              // 000000004AD8: BF8C0070
	s_barrier                                                  // 000000004ADC: BF8A0000
	v_mfma_f32_16x16x32_fp8_fp8 v[48:51], a[48:49], a[0:1], v[48:51]// 000000004AE0: D3F30030 1CC20130
	buffer_load_dwordx4 a[56:59], v46, s[84:87], 0 offen       // 000000004AE8: E05C1000 8095382E
	v_mfma_f32_16x16x32_fp8_fp8 v[48:51], a[50:51], a[2:3], v[48:51]// 000000004AF0: D3F30030 1CC20532
	v_mfma_f32_16x16x32_fp8_fp8 v[48:51], a[52:53], a[4:5], v[48:51]// 000000004AF8: D3F30030 1CC20934
	v_mfma_f32_16x16x32_fp8_fp8 v[48:51], a[54:55], a[6:7], v[48:51]// 000000004B00: D3F30030 1CC20D36
	v_mfma_f32_16x16x32_fp8_fp8 v[52:55], a[48:49], a[8:9], v[52:55]// 000000004B08: D3F30034 1CD21130
	buffer_load_dwordx4 a[60:63], v46, s[84:87], 0 offen offset:1024// 000000004B10: E05C1400 80953C2E
	buffer_load_dword v40, s[20:23], 0 offen lds               // 000000004B18: E0511000 80050028
	s_add_u32 m0, 0x100, s48                                   // 000000004B20: 807C30FF 00000100
	v_mfma_f32_16x16x32_fp8_fp8 v[52:55], a[50:51], a[10:11], v[52:55]// 000000004B28: D3F30034 1CD21532
	v_mfma_f32_16x16x32_fp8_fp8 v[52:55], a[52:53], a[12:13], v[52:55]// 000000004B30: D3F30034 1CD21934
	buffer_load_dword v41, s[20:23], 0 offen lds               // 000000004B38: E0511000 80050029
	s_add_u32 m0, 0x200, s48                                   // 000000004B40: 807C30FF 00000200
	v_mfma_f32_16x16x32_fp8_fp8 v[52:55], a[54:55], a[14:15], v[52:55]// 000000004B48: D3F30034 1CD21D36
	v_mfma_f32_16x16x32_fp8_fp8 v[56:59], a[48:49], a[16:17], v[56:59]// 000000004B50: D3F30038 1CE22130
	buffer_load_dword v42, s[20:23], 0 offen lds               // 000000004B58: E0511000 8005002A
	s_add_u32 m0, 0x300, s48                                   // 000000004B60: 807C30FF 00000300
	v_mfma_f32_16x16x32_fp8_fp8 v[56:59], a[50:51], a[18:19], v[56:59]// 000000004B68: D3F30038 1CE22532
	s_add_u32 s60, 0x80, s80                                   // 000000004B70: 803C50FF 00000080
	s_cmp_lt_u32 s60, s81                                      // 000000004B78: BF0A513C
	s_cselect_b32 s83, s83, 0                                  // 000000004B7C: 85538053
	v_mfma_f32_16x16x32_fp8_fp8 v[56:59], a[52:53], a[20:21], v[56:59]// 000000004B80: D3F30038 1CE22934
	buffer_load_dword v43, s[20:23], 0 offen lds               // 000000004B88: E0511000 8005002B
	s_add_u32 m0, 0x400, s48                                   // 000000004B90: 807C30FF 00000400
	v_mfma_f32_16x16x32_fp8_fp8 v[56:59], a[54:55], a[22:23], v[56:59]// 000000004B98: D3F30038 1CE22D36
	buffer_load_dword v44, s[20:23], 0 offen lds               // 000000004BA0: E0511000 8005002C
	s_add_u32 m0, 0x500, s48                                   // 000000004BA8: 807C30FF 00000500
	buffer_load_dword v45, s[20:23], 0 offen lds               // 000000004BB0: E0511000 8005002D
	s_add_u32 m0, 0, s49                                       // 000000004BB8: 807C3180
	s_waitcnt vmcnt(6)                                         // 000000004BBC: BF8C0F76
	v_mfma_f32_16x16x32_fp8_fp8 v[60:63], a[56:57], a[0:1], v[60:63]// 000000004BC0: D3F3003C 1CF20138
	buffer_load_dwordx4 a[48:51], v46, s[24:27], 0 offen       // 000000004BC8: E05C1000 8086302E
	v_mfma_f32_16x16x32_fp8_fp8 v[60:63], a[58:59], a[2:3], v[60:63]// 000000004BD0: D3F3003C 1CF2053A
	v_mfma_f32_16x16x32_fp8_fp8 v[60:63], a[60:61], a[4:5], v[60:63]// 000000004BD8: D3F3003C 1CF2093C
	ds_read_b128 a[24:27], v2 offset:6272                      // 000000004BE0: DBFE1880 18000002
	ds_read_b128 a[28:31], v2 offset:6336                      // 000000004BE8: DBFE18C0 1C000002
	v_mfma_f32_16x16x32_fp8_fp8 v[60:63], a[62:63], a[6:7], v[60:63]// 000000004BF0: D3F3003C 1CF20D3E
	v_mfma_f32_16x16x32_fp8_fp8 v[64:67], a[56:57], a[8:9], v[64:67]// 000000004BF8: D3F30040 1D021138
	buffer_load_dwordx4 a[52:55], v46, s[24:27], 0 offen offset:1024// 000000004C00: E05C1400 8086342E
	v_mfma_f32_16x16x32_fp8_fp8 v[64:67], a[58:59], a[10:11], v[64:67]// 000000004C08: D3F30040 1D02153A
	v_mfma_f32_16x16x32_fp8_fp8 v[64:67], a[60:61], a[12:13], v[64:67]// 000000004C10: D3F30040 1D02193C
	ds_read_b128 a[32:35], v2 offset:6784                      // 000000004C18: DBFE1A80 20000002
	ds_read_b128 a[36:39], v2 offset:6848                      // 000000004C20: DBFE1AC0 24000002
	s_add_u32 s60, 0x180, s80                                  // 000000004C28: 803C50FF 00000180
	s_cmp_lt_u32 s60, s81                                      // 000000004C30: BF0A513C
	s_cselect_b32 s57, s57, 0                                  // 000000004C34: 85398039
	v_mfma_f32_16x16x32_fp8_fp8 v[64:67], a[62:63], a[14:15], v[64:67]// 000000004C38: D3F30040 1D021D3E
	s_add_u32 s60, 0x100, s80                                  // 000000004C40: 803C50FF 00000100
	s_cmp_lt_u32 s60, s81                                      // 000000004C48: BF0A513C
	s_cselect_b32 s58, s58, 0                                  // 000000004C4C: 853A803A
	v_mfma_f32_16x16x32_fp8_fp8 v[68:71], a[56:57], a[16:17], v[68:71]// 000000004C50: D3F30044 1D122138
	s_add_u32 s24, s58, s24                                    // 000000004C58: 8018183A
	s_addc_u32 s25, 0, s25                                     // 000000004C5C: 82191980
	v_mfma_f32_16x16x32_fp8_fp8 v[68:71], a[58:59], a[18:19], v[68:71]// 000000004C60: D3F30044 1D12253A
	s_add_u32 s20, s57, s20                                    // 000000004C68: 80141439
	s_addc_u32 s21, 0, s21                                     // 000000004C6C: 82151580
	v_mfma_f32_16x16x32_fp8_fp8 v[68:71], a[60:61], a[20:21], v[68:71]// 000000004C70: D3F30044 1D12293C
	ds_read_b128 a[40:43], v2 offset:7296                      // 000000004C78: DBFE1C80 28000002
	ds_read_b128 a[44:47], v2 offset:7360                      // 000000004C80: DBFE1CC0 2C000002
	s_add_u32 s84, s83, s84                                    // 000000004C88: 80545453
	s_addc_u32 s85, 0, s85                                     // 000000004C8C: 82555580
	v_mfma_f32_16x16x32_fp8_fp8 v[68:71], a[62:63], a[22:23], v[68:71]// 000000004C90: D3F30044 1D122D3E
	s_addk_i32 s80, 0x80                                       // 000000004C98: B7500080
	s_cmp_lt_i32 s80, s81                                      // 000000004C9C: BF045150
	s_cbranch_scc0 label_0920                                  // 000000004CA0: BF840074
	s_waitcnt vmcnt(0) lgkmcnt(0)                              // 000000004CA4: BF8C0070
	s_barrier                                                  // 000000004CA8: BF8A0000
	v_mfma_f32_16x16x32_fp8_fp8 v[48:51], a[48:49], a[24:25], v[48:51]// 000000004CAC: D3F30030 1CC23130
	buffer_load_dwordx4 a[56:59], v46, s[84:87], 0 offen       // 000000004CB4: E05C1000 8095382E
	v_mfma_f32_16x16x32_fp8_fp8 v[48:51], a[50:51], a[26:27], v[48:51]// 000000004CBC: D3F30030 1CC23532
	v_mfma_f32_16x16x32_fp8_fp8 v[48:51], a[52:53], a[28:29], v[48:51]// 000000004CC4: D3F30030 1CC23934
	v_mfma_f32_16x16x32_fp8_fp8 v[48:51], a[54:55], a[30:31], v[48:51]// 000000004CCC: D3F30030 1CC23D36
	v_mfma_f32_16x16x32_fp8_fp8 v[52:55], a[48:49], a[32:33], v[52:55]// 000000004CD4: D3F30034 1CD24130
	buffer_load_dwordx4 a[60:63], v46, s[84:87], 0 offen offset:1024// 000000004CDC: E05C1400 80953C2E
	buffer_load_dword v40, s[20:23], 0 offen lds               // 000000004CE4: E0511000 80050028
	s_add_u32 m0, 0x100, s49                                   // 000000004CEC: 807C31FF 00000100
	v_mfma_f32_16x16x32_fp8_fp8 v[52:55], a[50:51], a[34:35], v[52:55]// 000000004CF4: D3F30034 1CD24532
	v_mfma_f32_16x16x32_fp8_fp8 v[52:55], a[52:53], a[36:37], v[52:55]// 000000004CFC: D3F30034 1CD24934
	buffer_load_dword v41, s[20:23], 0 offen lds               // 000000004D04: E0511000 80050029
	s_add_u32 m0, 0x200, s49                                   // 000000004D0C: 807C31FF 00000200
	v_mfma_f32_16x16x32_fp8_fp8 v[52:55], a[54:55], a[38:39], v[52:55]// 000000004D14: D3F30034 1CD24D36
	v_mfma_f32_16x16x32_fp8_fp8 v[56:59], a[48:49], a[40:41], v[56:59]// 000000004D1C: D3F30038 1CE25130
	buffer_load_dword v42, s[20:23], 0 offen lds               // 000000004D24: E0511000 8005002A
	s_add_u32 m0, 0x300, s49                                   // 000000004D2C: 807C31FF 00000300
	v_mfma_f32_16x16x32_fp8_fp8 v[56:59], a[50:51], a[42:43], v[56:59]// 000000004D34: D3F30038 1CE25532
	s_add_u32 s60, 0x80, s80                                   // 000000004D3C: 803C50FF 00000080
	s_cmp_lt_u32 s60, s81                                      // 000000004D44: BF0A513C
	s_cselect_b32 s83, s83, 0                                  // 000000004D48: 85538053
	v_mfma_f32_16x16x32_fp8_fp8 v[56:59], a[52:53], a[44:45], v[56:59]// 000000004D4C: D3F30038 1CE25934
	buffer_load_dword v43, s[20:23], 0 offen lds               // 000000004D54: E0511000 8005002B
	s_add_u32 m0, 0x400, s49                                   // 000000004D5C: 807C31FF 00000400
	v_mfma_f32_16x16x32_fp8_fp8 v[56:59], a[54:55], a[46:47], v[56:59]// 000000004D64: D3F30038 1CE25D36
	buffer_load_dword v44, s[20:23], 0 offen lds               // 000000004D6C: E0511000 8005002C
	s_add_u32 m0, 0x500, s49                                   // 000000004D74: 807C31FF 00000500
	buffer_load_dword v45, s[20:23], 0 offen lds               // 000000004D7C: E0511000 8005002D
	s_add_u32 m0, 0, s48                                       // 000000004D84: 807C3080
	s_waitcnt vmcnt(6)                                         // 000000004D88: BF8C0F76
	v_mfma_f32_16x16x32_fp8_fp8 v[60:63], a[56:57], a[24:25], v[60:63]// 000000004D8C: D3F3003C 1CF23138
	buffer_load_dwordx4 a[48:51], v46, s[24:27], 0 offen       // 000000004D94: E05C1000 8086302E
	v_mfma_f32_16x16x32_fp8_fp8 v[60:63], a[58:59], a[26:27], v[60:63]// 000000004D9C: D3F3003C 1CF2353A
	v_mfma_f32_16x16x32_fp8_fp8 v[60:63], a[60:61], a[28:29], v[60:63]// 000000004DA4: D3F3003C 1CF2393C
	ds_read_b128 a[0:3], v2                                    // 000000004DAC: DBFE0000 00000002
	ds_read_b128 a[4:7], v2 offset:64                          // 000000004DB4: DBFE0040 04000002
	v_mfma_f32_16x16x32_fp8_fp8 v[60:63], a[62:63], a[30:31], v[60:63]// 000000004DBC: D3F3003C 1CF23D3E
	v_mfma_f32_16x16x32_fp8_fp8 v[64:67], a[56:57], a[32:33], v[64:67]// 000000004DC4: D3F30040 1D024138
	buffer_load_dwordx4 a[52:55], v46, s[24:27], 0 offen offset:1024// 000000004DCC: E05C1400 8086342E
	v_mfma_f32_16x16x32_fp8_fp8 v[64:67], a[58:59], a[34:35], v[64:67]// 000000004DD4: D3F30040 1D02453A
	v_mfma_f32_16x16x32_fp8_fp8 v[64:67], a[60:61], a[36:37], v[64:67]// 000000004DDC: D3F30040 1D02493C
	ds_read_b128 a[8:11], v2 offset:512                        // 000000004DE4: DBFE0200 08000002
	ds_read_b128 a[12:15], v2 offset:576                       // 000000004DEC: DBFE0240 0C000002
	s_add_u32 s60, 0x180, s80                                  // 000000004DF4: 803C50FF 00000180
	s_cmp_lt_u32 s60, s81                                      // 000000004DFC: BF0A513C
	s_cselect_b32 s57, s57, 0                                  // 000000004E00: 85398039
	v_mfma_f32_16x16x32_fp8_fp8 v[64:67], a[62:63], a[38:39], v[64:67]// 000000004E04: D3F30040 1D024D3E
	s_add_u32 s60, 0x100, s80                                  // 000000004E0C: 803C50FF 00000100
	s_cmp_lt_u32 s60, s81                                      // 000000004E14: BF0A513C
	s_cselect_b32 s58, s58, 0                                  // 000000004E18: 853A803A
	v_mfma_f32_16x16x32_fp8_fp8 v[68:71], a[56:57], a[40:41], v[68:71]// 000000004E1C: D3F30044 1D125138
	s_add_u32 s24, s58, s24                                    // 000000004E24: 8018183A
	s_addc_u32 s25, 0, s25                                     // 000000004E28: 82191980
	v_mfma_f32_16x16x32_fp8_fp8 v[68:71], a[58:59], a[42:43], v[68:71]// 000000004E2C: D3F30044 1D12553A
	s_add_u32 s20, s57, s20                                    // 000000004E34: 80141439
	s_addc_u32 s21, 0, s21                                     // 000000004E38: 82151580
	v_mfma_f32_16x16x32_fp8_fp8 v[68:71], a[60:61], a[44:45], v[68:71]// 000000004E3C: D3F30044 1D12593C
	ds_read_b128 a[16:19], v2 offset:1024                      // 000000004E44: DBFE0400 10000002
	ds_read_b128 a[20:23], v2 offset:1088                      // 000000004E4C: DBFE0440 14000002
	s_add_u32 s84, s83, s84                                    // 000000004E54: 80545453
	s_addc_u32 s85, 0, s85                                     // 000000004E58: 82555580
	v_mfma_f32_16x16x32_fp8_fp8 v[68:71], a[62:63], a[46:47], v[68:71]// 000000004E5C: D3F30044 1D125D3E
	s_addk_i32 s80, 0x80                                       // 000000004E64: B7500080
	s_cmp_lt_i32 s80, s81                                      // 000000004E68: BF045150
	s_cbranch_scc0 label_0920                                  // 000000004E6C: BF840001
	s_branch label_0839                                        // 000000004E70: BF82FF19

0000000000004e74 <label_0920>:
	v_mul_f32_dpp v48, v24, v48 row_newbcast:0 row_mask:0xf bank_mask:0xf// 000000004E74: 0A6060FA FF015018
	v_mul_f32_dpp v49, v24, v49 row_newbcast:1 row_mask:0xf bank_mask:0xf// 000000004E7C: 0A6262FA FF015118
	v_mul_f32_dpp v50, v24, v50 row_newbcast:2 row_mask:0xf bank_mask:0xf// 000000004E84: 0A6464FA FF015218
	v_mul_f32_dpp v51, v24, v51 row_newbcast:3 row_mask:0xf bank_mask:0xf// 000000004E8C: 0A6666FA FF015318
	v_mul_f32_dpp v52, v24, v52 row_newbcast:0 row_mask:0xf bank_mask:0xf// 000000004E94: 0A6868FA FF015018
	v_mul_f32_dpp v53, v24, v53 row_newbcast:1 row_mask:0xf bank_mask:0xf// 000000004E9C: 0A6A6AFA FF015118
	v_mul_f32_dpp v54, v24, v54 row_newbcast:2 row_mask:0xf bank_mask:0xf// 000000004EA4: 0A6C6CFA FF015218
	v_mul_f32_dpp v55, v24, v55 row_newbcast:3 row_mask:0xf bank_mask:0xf// 000000004EAC: 0A6E6EFA FF015318
	v_mul_f32_dpp v56, v24, v56 row_newbcast:0 row_mask:0xf bank_mask:0xf// 000000004EB4: 0A7070FA FF015018
	v_mul_f32_dpp v57, v24, v57 row_newbcast:1 row_mask:0xf bank_mask:0xf// 000000004EBC: 0A7272FA FF015118
	v_mul_f32_dpp v58, v24, v58 row_newbcast:2 row_mask:0xf bank_mask:0xf// 000000004EC4: 0A7474FA FF015218
	v_mul_f32_dpp v59, v24, v59 row_newbcast:3 row_mask:0xf bank_mask:0xf// 000000004ECC: 0A7676FA FF015318
	v_mul_f32_dpp v60, v26, v60 row_newbcast:0 row_mask:0xf bank_mask:0xf// 000000004ED4: 0A7878FA FF01501A
	v_mul_f32_dpp v61, v26, v61 row_newbcast:1 row_mask:0xf bank_mask:0xf// 000000004EDC: 0A7A7AFA FF01511A
	v_mul_f32_dpp v62, v26, v62 row_newbcast:2 row_mask:0xf bank_mask:0xf// 000000004EE4: 0A7C7CFA FF01521A
	v_mul_f32_dpp v63, v26, v63 row_newbcast:3 row_mask:0xf bank_mask:0xf// 000000004EEC: 0A7E7EFA FF01531A
	v_mul_f32_dpp v64, v26, v64 row_newbcast:0 row_mask:0xf bank_mask:0xf// 000000004EF4: 0A8080FA FF01501A
	v_mul_f32_dpp v65, v26, v65 row_newbcast:1 row_mask:0xf bank_mask:0xf// 000000004EFC: 0A8282FA FF01511A
	v_mul_f32_dpp v66, v26, v66 row_newbcast:2 row_mask:0xf bank_mask:0xf// 000000004F04: 0A8484FA FF01521A
	v_mul_f32_dpp v67, v26, v67 row_newbcast:3 row_mask:0xf bank_mask:0xf// 000000004F0C: 0A8686FA FF01531A
	v_mul_f32_dpp v68, v26, v68 row_newbcast:0 row_mask:0xf bank_mask:0xf// 000000004F14: 0A8888FA FF01501A
	v_mul_f32_dpp v69, v26, v69 row_newbcast:1 row_mask:0xf bank_mask:0xf// 000000004F1C: 0A8A8AFA FF01511A
	v_mul_f32_dpp v70, v26, v70 row_newbcast:2 row_mask:0xf bank_mask:0xf// 000000004F24: 0A8C8CFA FF01521A
	v_mul_f32_dpp v71, v26, v71 row_newbcast:3 row_mask:0xf bank_mask:0xf// 000000004F2C: 0A8E8EFA FF01531A
	v_mul_f32_e32 v31, v31, v72                                // 000000004F34: 0A3E911F
	v_mov_b32_e32 v4, v31                                      // 000000004F38: 7E08031F
	v_mov_b32_e32 v5, v4                                       // 000000004F3C: 7E0A0304
	v_pk_mul_f32 v[48:49], v[4:5], v[48:49]                    // 000000004F40: D3B14030 18026104
	v_pk_mul_f32 v[60:61], v[4:5], v[60:61]                    // 000000004F48: D3B1403C 18027904
	v_pk_mul_f32 v[50:51], v[4:5], v[50:51]                    // 000000004F50: D3B14032 18026504
	v_pk_mul_f32 v[62:63], v[4:5], v[62:63]                    // 000000004F58: D3B1403E 18027D04
	v_mul_f32_e32 v32, v32, v73                                // 000000004F60: 0A409320
	v_mov_b32_e32 v4, v32                                      // 000000004F64: 7E080320
	v_mov_b32_e32 v5, v4                                       // 000000004F68: 7E0A0304
	v_pk_mul_f32 v[52:53], v[4:5], v[52:53]                    // 000000004F6C: D3B14034 18026904
	v_pk_mul_f32 v[64:65], v[4:5], v[64:65]                    // 000000004F74: D3B14040 18028104
	v_pk_mul_f32 v[54:55], v[4:5], v[54:55]                    // 000000004F7C: D3B14036 18026D04
	v_pk_mul_f32 v[66:67], v[4:5], v[66:67]                    // 000000004F84: D3B14042 18028504
	v_mul_f32_e32 v33, v33, v74                                // 000000004F8C: 0A429521
	v_mov_b32_e32 v4, v33                                      // 000000004F90: 7E080321
	v_mov_b32_e32 v5, v4                                       // 000000004F94: 7E0A0304
	v_pk_mul_f32 v[56:57], v[4:5], v[56:57]                    // 000000004F98: D3B14038 18027104
	v_pk_mul_f32 v[68:69], v[4:5], v[68:69]                    // 000000004FA0: D3B14044 18028904
	v_pk_mul_f32 v[58:59], v[4:5], v[58:59]                    // 000000004FA8: D3B1403A 18027504
	v_pk_mul_f32 v[70:71], v[4:5], v[70:71]                    // 000000004FB0: D3B14046 18028D04
	s_cmp_eq_u32 s88, 0                                        // 000000004FB8: BF068058
	s_cbranch_scc0 label_0BC2                                  // 000000004FBC: BF84024F
	s_cmp_eq_u32 s89, 0                                        // 000000004FC0: BF068059
	s_cbranch_scc1 label_09F2                                  // 000000004FC4: BF85007D
	v_mov_b32_e32 v8, v1                                       // 000000004FC8: 7E100301
	v_mov_b32_e32 v9, v1                                       // 000000004FCC: 7E120301
	s_mov_b32 s60, s6                                          // 000000004FD0: BEBC0006
	s_mov_b32 s61, s6                                          // 000000004FD4: BEBD0006
	v_pk_mul_f32 v[4:5], v[48:49], v[48:49]                    // 000000004FD8: D3B14004 18026130
	v_pk_mul_f32 v[6:7], v[50:51], v[50:51]                    // 000000004FE0: D3B14006 18026532
	v_pk_fma_f32 v[4:5], v[4:5], s[78:79], v[8:9]              // 000000004FE8: D3B04004 1C209D04
	v_pk_fma_f32 v[6:7], v[6:7], s[78:79], v[8:9]              // 000000004FF0: D3B04006 1C209D06
	v_pk_mul_f32 v[4:5], v[4:5], v[48:49]                      // 000000004FF8: D3B14004 18026104
	v_pk_mul_f32 v[6:7], v[6:7], v[50:51]                      // 000000005000: D3B14006 18026506
	v_pk_mul_f32 v[4:5], v[4:5], s[60:61]                      // 000000005008: D3B14004 18007904
	v_pk_mul_f32 v[6:7], v[6:7], s[60:61]                      // 000000005010: D3B14006 18007906
	v_exp_f32_e32 v4, v4                                       // 000000005018: 7E084104
	v_exp_f32_e32 v5, v5                                       // 00000000501C: 7E0A4105
	v_exp_f32_e32 v6, v6                                       // 000000005020: 7E0C4106
	v_exp_f32_e32 v7, v7                                       // 000000005024: 7E0E4107
	v_add_f32_e64 v4, v4, 1.0                                  // 000000005028: D1010004 0001E504
	v_add_f32_e64 v5, v5, 1.0                                  // 000000005030: D1010005 0001E505
	v_add_f32_e64 v6, v6, 1.0                                  // 000000005038: D1010006 0001E506
	v_add_f32_e64 v7, v7, 1.0                                  // 000000005040: D1010007 0001E507
	v_rcp_f32_e32 v4, v4                                       // 000000005048: 7E084504
	v_rcp_f32_e32 v5, v5                                       // 00000000504C: 7E0A4505
	v_rcp_f32_e32 v6, v6                                       // 000000005050: 7E0C4506
	v_rcp_f32_e32 v7, v7                                       // 000000005054: 7E0E4507
	v_mul_f32_e32 v48, v48, v4                                 // 000000005058: 0A600930
	v_mul_f32_e32 v49, v49, v5                                 // 00000000505C: 0A620B31
	v_mul_f32_e32 v50, v50, v6                                 // 000000005060: 0A640D32
	v_mul_f32_e32 v51, v51, v7                                 // 000000005064: 0A660F33
	v_mul_f32_e32 v48, v48, v60                                // 000000005068: 0A607930
	v_mul_f32_e32 v49, v49, v61                                // 00000000506C: 0A627B31
	v_mul_f32_e32 v50, v50, v62                                // 000000005070: 0A647D32
	v_mul_f32_e32 v51, v51, v63                                // 000000005074: 0A667F33
	v_pk_mul_f32 v[4:5], v[52:53], v[52:53]                    // 000000005078: D3B14004 18026934
	v_pk_mul_f32 v[6:7], v[54:55], v[54:55]                    // 000000005080: D3B14006 18026D36
	v_pk_fma_f32 v[4:5], v[4:5], s[78:79], v[8:9]              // 000000005088: D3B04004 1C209D04
	v_pk_fma_f32 v[6:7], v[6:7], s[78:79], v[8:9]              // 000000005090: D3B04006 1C209D06
	v_pk_mul_f32 v[4:5], v[4:5], v[52:53]                      // 000000005098: D3B14004 18026904
	v_pk_mul_f32 v[6:7], v[6:7], v[54:55]                      // 0000000050A0: D3B14006 18026D06
	v_pk_mul_f32 v[4:5], v[4:5], s[60:61]                      // 0000000050A8: D3B14004 18007904
	v_pk_mul_f32 v[6:7], v[6:7], s[60:61]                      // 0000000050B0: D3B14006 18007906
	v_exp_f32_e32 v4, v4                                       // 0000000050B8: 7E084104
	v_exp_f32_e32 v5, v5                                       // 0000000050BC: 7E0A4105
	v_exp_f32_e32 v6, v6                                       // 0000000050C0: 7E0C4106
	v_exp_f32_e32 v7, v7                                       // 0000000050C4: 7E0E4107
	v_add_f32_e64 v4, v4, 1.0                                  // 0000000050C8: D1010004 0001E504
	v_add_f32_e64 v5, v5, 1.0                                  // 0000000050D0: D1010005 0001E505
	v_add_f32_e64 v6, v6, 1.0                                  // 0000000050D8: D1010006 0001E506
	v_add_f32_e64 v7, v7, 1.0                                  // 0000000050E0: D1010007 0001E507
	v_rcp_f32_e32 v4, v4                                       // 0000000050E8: 7E084504
	v_rcp_f32_e32 v5, v5                                       // 0000000050EC: 7E0A4505
	v_rcp_f32_e32 v6, v6                                       // 0000000050F0: 7E0C4506
	v_rcp_f32_e32 v7, v7                                       // 0000000050F4: 7E0E4507
	v_mul_f32_e32 v52, v52, v4                                 // 0000000050F8: 0A680934
	v_mul_f32_e32 v53, v53, v5                                 // 0000000050FC: 0A6A0B35
	v_mul_f32_e32 v54, v54, v6                                 // 000000005100: 0A6C0D36
	v_mul_f32_e32 v55, v55, v7                                 // 000000005104: 0A6E0F37
	v_mul_f32_e32 v52, v52, v64                                // 000000005108: 0A688134
	v_mul_f32_e32 v53, v53, v65                                // 00000000510C: 0A6A8335
	v_mul_f32_e32 v54, v54, v66                                // 000000005110: 0A6C8536
	v_mul_f32_e32 v55, v55, v67                                // 000000005114: 0A6E8737
	v_pk_mul_f32 v[4:5], v[56:57], v[56:57]                    // 000000005118: D3B14004 18027138
	v_pk_mul_f32 v[6:7], v[58:59], v[58:59]                    // 000000005120: D3B14006 1802753A
	v_pk_fma_f32 v[4:5], v[4:5], s[78:79], v[8:9]              // 000000005128: D3B04004 1C209D04
	v_pk_fma_f32 v[6:7], v[6:7], s[78:79], v[8:9]              // 000000005130: D3B04006 1C209D06
	v_pk_mul_f32 v[4:5], v[4:5], v[56:57]                      // 000000005138: D3B14004 18027104
	v_pk_mul_f32 v[6:7], v[6:7], v[58:59]                      // 000000005140: D3B14006 18027506
	v_pk_mul_f32 v[4:5], v[4:5], s[60:61]                      // 000000005148: D3B14004 18007904
	v_pk_mul_f32 v[6:7], v[6:7], s[60:61]                      // 000000005150: D3B14006 18007906
	v_exp_f32_e32 v4, v4                                       // 000000005158: 7E084104
	v_exp_f32_e32 v5, v5                                       // 00000000515C: 7E0A4105
	v_exp_f32_e32 v6, v6                                       // 000000005160: 7E0C4106
	v_exp_f32_e32 v7, v7                                       // 000000005164: 7E0E4107
	v_add_f32_e64 v4, v4, 1.0                                  // 000000005168: D1010004 0001E504
	v_add_f32_e64 v5, v5, 1.0                                  // 000000005170: D1010005 0001E505
	v_add_f32_e64 v6, v6, 1.0                                  // 000000005178: D1010006 0001E506
	v_add_f32_e64 v7, v7, 1.0                                  // 000000005180: D1010007 0001E507
	v_rcp_f32_e32 v4, v4                                       // 000000005188: 7E084504
	v_rcp_f32_e32 v5, v5                                       // 00000000518C: 7E0A4505
	v_rcp_f32_e32 v6, v6                                       // 000000005190: 7E0C4506
	v_rcp_f32_e32 v7, v7                                       // 000000005194: 7E0E4507
	v_mul_f32_e32 v56, v56, v4                                 // 000000005198: 0A700938
	v_mul_f32_e32 v57, v57, v5                                 // 00000000519C: 0A720B39
	v_mul_f32_e32 v58, v58, v6                                 // 0000000051A0: 0A740D3A
	v_mul_f32_e32 v59, v59, v7                                 // 0000000051A4: 0A760F3B
	v_mul_f32_e32 v56, v56, v68                                // 0000000051A8: 0A708938
	v_mul_f32_e32 v57, v57, v69                                // 0000000051AC: 0A728B39
	v_mul_f32_e32 v58, v58, v70                                // 0000000051B0: 0A748D3A
	v_mul_f32_e32 v59, v59, v71                                // 0000000051B4: 0A768F3B
	s_branch label_0A52                                        // 0000000051B8: BF820060

00000000000051bc <label_09F2>:
	v_mul_f32_e64 v4, -v48, s6                                 // 0000000051BC: D1050004 20000D30
	v_mul_f32_e64 v5, -v49, s6                                 // 0000000051C4: D1050005 20000D31
	v_mul_f32_e64 v6, -v50, s6                                 // 0000000051CC: D1050006 20000D32
	v_mul_f32_e64 v7, -v51, s6                                 // 0000000051D4: D1050007 20000D33
	v_exp_f32_e32 v4, v4                                       // 0000000051DC: 7E084104
	v_exp_f32_e32 v5, v5                                       // 0000000051E0: 7E0A4105
	v_exp_f32_e32 v6, v6                                       // 0000000051E4: 7E0C4106
	v_exp_f32_e32 v7, v7                                       // 0000000051E8: 7E0E4107
	v_add_f32_e64 v4, v4, 1.0                                  // 0000000051EC: D1010004 0001E504
	v_add_f32_e64 v5, v5, 1.0                                  // 0000000051F4: D1010005 0001E505
	v_add_f32_e64 v6, v6, 1.0                                  // 0000000051FC: D1010006 0001E506
	v_add_f32_e64 v7, v7, 1.0                                  // 000000005204: D1010007 0001E507
	v_rcp_f32_e32 v4, v4                                       // 00000000520C: 7E084504
	v_rcp_f32_e32 v5, v5                                       // 000000005210: 7E0A4505
	v_rcp_f32_e32 v6, v6                                       // 000000005214: 7E0C4506
	v_rcp_f32_e32 v7, v7                                       // 000000005218: 7E0E4507
	v_mul_f32_e32 v48, v48, v4                                 // 00000000521C: 0A600930
	v_mul_f32_e32 v49, v49, v5                                 // 000000005220: 0A620B31
	v_mul_f32_e32 v50, v50, v6                                 // 000000005224: 0A640D32
	v_mul_f32_e32 v51, v51, v7                                 // 000000005228: 0A660F33
	v_mul_f32_e32 v48, v48, v60                                // 00000000522C: 0A607930
	v_mul_f32_e32 v49, v49, v61                                // 000000005230: 0A627B31
	v_mul_f32_e32 v50, v50, v62                                // 000000005234: 0A647D32
	v_mul_f32_e32 v51, v51, v63                                // 000000005238: 0A667F33
	v_mul_f32_e64 v4, -v52, s6                                 // 00000000523C: D1050004 20000D34
	v_mul_f32_e64 v5, -v53, s6                                 // 000000005244: D1050005 20000D35
	v_mul_f32_e64 v6, -v54, s6                                 // 00000000524C: D1050006 20000D36
	v_mul_f32_e64 v7, -v55, s6                                 // 000000005254: D1050007 20000D37
	v_exp_f32_e32 v4, v4                                       // 00000000525C: 7E084104
	v_exp_f32_e32 v5, v5                                       // 000000005260: 7E0A4105
	v_exp_f32_e32 v6, v6                                       // 000000005264: 7E0C4106
	v_exp_f32_e32 v7, v7                                       // 000000005268: 7E0E4107
	v_add_f32_e64 v4, v4, 1.0                                  // 00000000526C: D1010004 0001E504
	v_add_f32_e64 v5, v5, 1.0                                  // 000000005274: D1010005 0001E505
	v_add_f32_e64 v6, v6, 1.0                                  // 00000000527C: D1010006 0001E506
	v_add_f32_e64 v7, v7, 1.0                                  // 000000005284: D1010007 0001E507
	v_rcp_f32_e32 v4, v4                                       // 00000000528C: 7E084504
	v_rcp_f32_e32 v5, v5                                       // 000000005290: 7E0A4505
	v_rcp_f32_e32 v6, v6                                       // 000000005294: 7E0C4506
	v_rcp_f32_e32 v7, v7                                       // 000000005298: 7E0E4507
	v_mul_f32_e32 v52, v52, v4                                 // 00000000529C: 0A680934
	v_mul_f32_e32 v53, v53, v5                                 // 0000000052A0: 0A6A0B35
	v_mul_f32_e32 v54, v54, v6                                 // 0000000052A4: 0A6C0D36
	v_mul_f32_e32 v55, v55, v7                                 // 0000000052A8: 0A6E0F37
	v_mul_f32_e32 v52, v52, v64                                // 0000000052AC: 0A688134
	v_mul_f32_e32 v53, v53, v65                                // 0000000052B0: 0A6A8335
	v_mul_f32_e32 v54, v54, v66                                // 0000000052B4: 0A6C8536
	v_mul_f32_e32 v55, v55, v67                                // 0000000052B8: 0A6E8737
	v_mul_f32_e64 v4, -v56, s6                                 // 0000000052BC: D1050004 20000D38
	v_mul_f32_e64 v5, -v57, s6                                 // 0000000052C4: D1050005 20000D39
	v_mul_f32_e64 v6, -v58, s6                                 // 0000000052CC: D1050006 20000D3A
	v_mul_f32_e64 v7, -v59, s6                                 // 0000000052D4: D1050007 20000D3B
	v_exp_f32_e32 v4, v4                                       // 0000000052DC: 7E084104
	v_exp_f32_e32 v5, v5                                       // 0000000052E0: 7E0A4105
	v_exp_f32_e32 v6, v6                                       // 0000000052E4: 7E0C4106
	v_exp_f32_e32 v7, v7                                       // 0000000052E8: 7E0E4107
	v_add_f32_e64 v4, v4, 1.0                                  // 0000000052EC: D1010004 0001E504
	v_add_f32_e64 v5, v5, 1.0                                  // 0000000052F4: D1010005 0001E505
	v_add_f32_e64 v6, v6, 1.0                                  // 0000000052FC: D1010006 0001E506
	v_add_f32_e64 v7, v7, 1.0                                  // 000000005304: D1010007 0001E507
	v_rcp_f32_e32 v4, v4                                       // 00000000530C: 7E084504
	v_rcp_f32_e32 v5, v5                                       // 000000005310: 7E0A4505
	v_rcp_f32_e32 v6, v6                                       // 000000005314: 7E0C4506
	v_rcp_f32_e32 v7, v7                                       // 000000005318: 7E0E4507
	v_mul_f32_e32 v56, v56, v4                                 // 00000000531C: 0A700938
	v_mul_f32_e32 v57, v57, v5                                 // 000000005320: 0A720B39
	v_mul_f32_e32 v58, v58, v6                                 // 000000005324: 0A740D3A
	v_mul_f32_e32 v59, v59, v7                                 // 000000005328: 0A760F3B
	v_mul_f32_e32 v56, v56, v68                                // 00000000532C: 0A708938
	v_mul_f32_e32 v57, v57, v69                                // 000000005330: 0A728B39
	v_mul_f32_e32 v58, v58, v70                                // 000000005334: 0A748D3A
	v_mul_f32_e32 v59, v59, v71                                // 000000005338: 0A768F3B

000000000000533c <label_0A52>:
	v_cmp_u_f32_e64 s[46:47], v48, v48                         // 00000000533C: D048002E 00026130
	v_add3_u32 v16, v48, v19, 1                                // 000000005344: D1FF0010 02062730
	v_cndmask_b32_e64 v4, v16, v18, s[46:47]                   // 00000000534C: D1000004 00BA2510
	v_cmp_u_f32_e64 s[46:47], v49, v49                         // 000000005354: D048002E 00026331
	v_add3_u32 v16, v49, v19, 1                                // 00000000535C: D1FF0010 02062731
	v_cndmask_b32_e64 v5, v16, v18, s[46:47]                   // 000000005364: D1000005 00BA2510
	v_perm_b32 v48, v5, v4, s52                                // 00000000536C: D1ED0030 00D20905
	v_cmp_u_f32_e64 s[46:47], v50, v50                         // 000000005374: D048002E 00026532
	v_add3_u32 v16, v50, v19, 1                                // 00000000537C: D1FF0010 02062732
	v_cndmask_b32_e64 v4, v16, v18, s[46:47]                   // 000000005384: D1000004 00BA2510
	v_cmp_u_f32_e64 s[46:47], v51, v51                         // 00000000538C: D048002E 00026733
	v_add3_u32 v16, v51, v19, 1                                // 000000005394: D1FF0010 02062733
	v_cndmask_b32_e64 v5, v16, v18, s[46:47]                   // 00000000539C: D1000005 00BA2510
	v_perm_b32 v49, v5, v4, s52                                // 0000000053A4: D1ED0031 00D20905
	v_cmp_u_f32_e64 s[46:47], v52, v52                         // 0000000053AC: D048002E 00026934
	v_add3_u32 v16, v52, v19, 1                                // 0000000053B4: D1FF0010 02062734
	v_cndmask_b32_e64 v4, v16, v18, s[46:47]                   // 0000000053BC: D1000004 00BA2510
	v_cmp_u_f32_e64 s[46:47], v53, v53                         // 0000000053C4: D048002E 00026B35
	v_add3_u32 v16, v53, v19, 1                                // 0000000053CC: D1FF0010 02062735
	v_cndmask_b32_e64 v5, v16, v18, s[46:47]                   // 0000000053D4: D1000005 00BA2510
	v_perm_b32 v50, v5, v4, s52                                // 0000000053DC: D1ED0032 00D20905
	v_cmp_u_f32_e64 s[46:47], v54, v54                         // 0000000053E4: D048002E 00026D36
	v_add3_u32 v16, v54, v19, 1                                // 0000000053EC: D1FF0010 02062736
	v_cndmask_b32_e64 v4, v16, v18, s[46:47]                   // 0000000053F4: D1000004 00BA2510
	v_cmp_u_f32_e64 s[46:47], v55, v55                         // 0000000053FC: D048002E 00026F37
	v_add3_u32 v16, v55, v19, 1                                // 000000005404: D1FF0010 02062737
	v_cndmask_b32_e64 v5, v16, v18, s[46:47]                   // 00000000540C: D1000005 00BA2510
	v_perm_b32 v51, v5, v4, s52                                // 000000005414: D1ED0033 00D20905
	v_cmp_u_f32_e64 s[46:47], v56, v56                         // 00000000541C: D048002E 00027138
	v_add3_u32 v16, v56, v19, 1                                // 000000005424: D1FF0010 02062738
	v_cndmask_b32_e64 v4, v16, v18, s[46:47]                   // 00000000542C: D1000004 00BA2510
	v_cmp_u_f32_e64 s[46:47], v57, v57                         // 000000005434: D048002E 00027339
	v_add3_u32 v16, v57, v19, 1                                // 00000000543C: D1FF0010 02062739
	v_cndmask_b32_e64 v5, v16, v18, s[46:47]                   // 000000005444: D1000005 00BA2510
	v_perm_b32 v52, v5, v4, s52                                // 00000000544C: D1ED0034 00D20905
	v_cmp_u_f32_e64 s[46:47], v58, v58                         // 000000005454: D048002E 0002753A
	v_add3_u32 v16, v58, v19, 1                                // 00000000545C: D1FF0010 0206273A
	v_cndmask_b32_e64 v4, v16, v18, s[46:47]                   // 000000005464: D1000004 00BA2510
	v_cmp_u_f32_e64 s[46:47], v59, v59                         // 00000000546C: D048002E 0002773B
	v_add3_u32 v16, v59, v19, 1                                // 000000005474: D1FF0010 0206273B
	v_cndmask_b32_e64 v5, v16, v18, s[46:47]                   // 00000000547C: D1000005 00BA2510
	v_perm_b32 v53, v5, v4, s52                                // 000000005484: D1ED0035 00D20905
	ds_write_b64 v20, v[48:49]                                 // 00000000548C: D89A0000 00003014
	ds_write_b64 v20, v[50:51] offset:2176                     // 000000005494: D89A0880 00003214
	ds_write_b64 v20, v[52:53] offset:4352                     // 00000000549C: D89A1100 00003414
	v_lshrrev_b32_e32 v4, 5, v0                                // 0000000054A4: 20080085
	v_xor_b32_e32 v5, 1, v4                                    // 0000000054A8: 2A0A0881
	s_mul_i32 s60, s65, 2                                      // 0000000054AC: 923C8241
	s_cmp_eq_u32 s88, 0                                        // 0000000054B0: BF068058
	s_cselect_b32 s61, 1, 4                                    // 0000000054B4: 853D8481
	s_mul_i32 s60, s61, s60                                    // 0000000054B8: 923C3C3D
	v_readlane_b32 s82, v3, 0                                  // 0000000054BC: D2890052 00010103
	s_lshr_b32 s61, s82, 24                                    // 0000000054C4: 8F3D9852
	s_and_b32 s82, s82, 0xffffff                               // 0000000054C8: 8652FF52 00FFFFFF
	s_mul_i32 s82, s82, s71                                    // 0000000054D0: 92524752
	s_mul_i32 s61, s60, s61                                    // 0000000054D4: 923D3D3C
	s_add_u32 s82, s82, s61                                    // 0000000054D8: 80523D52
	v_mul_lo_u32 v6, v5, s82                                   // 0000000054DC: D2850006 0000A505
	v_readlane_b32 s82, v3, 1                                  // 0000000054E4: D2890052 00010303
	s_lshr_b32 s61, s82, 24                                    // 0000000054EC: 8F3D9852
	s_and_b32 s82, s82, 0xffffff                               // 0000000054F0: 8652FF52 00FFFFFF
	s_mul_i32 s82, s82, s71                                    // 0000000054F8: 92524752
	s_mul_i32 s61, s60, s61                                    // 0000000054FC: 923D3D3C
	s_add_u32 s82, s82, s61                                    // 000000005500: 80523D52
	v_mul_lo_u32 v7, v4, s82                                   // 000000005504: D2850007 0000A504
	v_add_u32_e32 v40, v6, v7                                  // 00000000550C: 68500F06
	v_readlane_b32 s82, v3, 2                                  // 000000005510: D2890052 00010503
	s_lshr_b32 s61, s82, 24                                    // 000000005518: 8F3D9852
	s_and_b32 s82, s82, 0xffffff                               // 00000000551C: 8652FF52 00FFFFFF
	s_mul_i32 s82, s82, s71                                    // 000000005524: 92524752
	s_mul_i32 s61, s60, s61                                    // 000000005528: 923D3D3C
	s_add_u32 s82, s82, s61                                    // 00000000552C: 80523D52
	v_mul_lo_u32 v6, v5, s82                                   // 000000005530: D2850006 0000A505
	v_readlane_b32 s82, v3, 3                                  // 000000005538: D2890052 00010703
	s_lshr_b32 s61, s82, 24                                    // 000000005540: 8F3D9852
	s_and_b32 s82, s82, 0xffffff                               // 000000005544: 8652FF52 00FFFFFF
	s_mul_i32 s82, s82, s71                                    // 00000000554C: 92524752
	s_mul_i32 s61, s60, s61                                    // 000000005550: 923D3D3C
	s_add_u32 s82, s82, s61                                    // 000000005554: 80523D52
	v_mul_lo_u32 v7, v4, s82                                   // 000000005558: D2850007 0000A504
	v_add_u32_e32 v41, v6, v7                                  // 000000005560: 68520F06
	v_readlane_b32 s82, v3, 4                                  // 000000005564: D2890052 00010903
	s_lshr_b32 s61, s82, 24                                    // 00000000556C: 8F3D9852
	s_and_b32 s82, s82, 0xffffff                               // 000000005570: 8652FF52 00FFFFFF
	s_mul_i32 s82, s82, s71                                    // 000000005578: 92524752
	s_mul_i32 s61, s60, s61                                    // 00000000557C: 923D3D3C
	s_add_u32 s82, s82, s61                                    // 000000005580: 80523D52
	v_mul_lo_u32 v6, v5, s82                                   // 000000005584: D2850006 0000A505
	v_readlane_b32 s82, v3, 5                                  // 00000000558C: D2890052 00010B03
	s_lshr_b32 s61, s82, 24                                    // 000000005594: 8F3D9852
	s_and_b32 s82, s82, 0xffffff                               // 000000005598: 8652FF52 00FFFFFF
	s_mul_i32 s82, s82, s71                                    // 0000000055A0: 92524752
	s_mul_i32 s61, s60, s61                                    // 0000000055A4: 923D3D3C
	s_add_u32 s82, s82, s61                                    // 0000000055A8: 80523D52
	v_mul_lo_u32 v7, v4, s82                                   // 0000000055AC: D2850007 0000A504
	v_add_u32_e32 v42, v6, v7                                  // 0000000055B4: 68540F06
	v_readlane_b32 s82, v3, 6                                  // 0000000055B8: D2890052 00010D03
	s_lshr_b32 s61, s82, 24                                    // 0000000055C0: 8F3D9852
	s_and_b32 s82, s82, 0xffffff                               // 0000000055C4: 8652FF52 00FFFFFF
	s_mul_i32 s82, s82, s71                                    // 0000000055CC: 92524752
	s_mul_i32 s61, s60, s61                                    // 0000000055D0: 923D3D3C
	s_add_u32 s82, s82, s61                                    // 0000000055D4: 80523D52
	v_mul_lo_u32 v6, v5, s82                                   // 0000000055D8: D2850006 0000A505
	v_readlane_b32 s82, v3, 7                                  // 0000000055E0: D2890052 00010F03
	s_lshr_b32 s61, s82, 24                                    // 0000000055E8: 8F3D9852
	s_and_b32 s82, s82, 0xffffff                               // 0000000055EC: 8652FF52 00FFFFFF
	s_mul_i32 s82, s82, s71                                    // 0000000055F4: 92524752
	s_mul_i32 s61, s60, s61                                    // 0000000055F8: 923D3D3C
	s_add_u32 s82, s82, s61                                    // 0000000055FC: 80523D52
	v_mul_lo_u32 v7, v4, s82                                   // 000000005600: D2850007 0000A504
	v_add_u32_e32 v43, v6, v7                                  // 000000005608: 68560F06
	v_readlane_b32 s82, v3, 8                                  // 00000000560C: D2890052 00011103
	s_lshr_b32 s61, s82, 24                                    // 000000005614: 8F3D9852
	s_and_b32 s82, s82, 0xffffff                               // 000000005618: 8652FF52 00FFFFFF
	s_mul_i32 s82, s82, s71                                    // 000000005620: 92524752
	s_mul_i32 s61, s60, s61                                    // 000000005624: 923D3D3C
	s_add_u32 s82, s82, s61                                    // 000000005628: 80523D52
	v_mul_lo_u32 v6, v5, s82                                   // 00000000562C: D2850006 0000A505
	v_readlane_b32 s82, v3, 9                                  // 000000005634: D2890052 00011303
	s_lshr_b32 s61, s82, 24                                    // 00000000563C: 8F3D9852
	s_and_b32 s82, s82, 0xffffff                               // 000000005640: 8652FF52 00FFFFFF
	s_mul_i32 s82, s82, s71                                    // 000000005648: 92524752
	s_mul_i32 s61, s60, s61                                    // 00000000564C: 923D3D3C
	s_add_u32 s82, s82, s61                                    // 000000005650: 80523D52
	v_mul_lo_u32 v7, v4, s82                                   // 000000005654: D2850007 0000A504
	v_add_u32_e32 v44, v6, v7                                  // 00000000565C: 68580F06
	v_readlane_b32 s82, v3, 10                                 // 000000005660: D2890052 00011503
	s_lshr_b32 s61, s82, 24                                    // 000000005668: 8F3D9852
	s_and_b32 s82, s82, 0xffffff                               // 00000000566C: 8652FF52 00FFFFFF
	s_mul_i32 s82, s82, s71                                    // 000000005674: 92524752
	s_mul_i32 s61, s60, s61                                    // 000000005678: 923D3D3C
	s_add_u32 s82, s82, s61                                    // 00000000567C: 80523D52
	v_mul_lo_u32 v6, v5, s82                                   // 000000005680: D2850006 0000A505
	v_readlane_b32 s82, v3, 11                                 // 000000005688: D2890052 00011703
	s_lshr_b32 s61, s82, 24                                    // 000000005690: 8F3D9852
	s_and_b32 s82, s82, 0xffffff                               // 000000005694: 8652FF52 00FFFFFF
	s_mul_i32 s82, s82, s71                                    // 00000000569C: 92524752
	s_mul_i32 s61, s60, s61                                    // 0000000056A0: 923D3D3C
	s_add_u32 s82, s82, s61                                    // 0000000056A4: 80523D52
	v_mul_lo_u32 v7, v4, s82                                   // 0000000056A8: D2850007 0000A504
	v_add_u32_e32 v45, v6, v7                                  // 0000000056B0: 685A0F06
	v_and_b32_e32 v4, 31, v0                                   // 0000000056B4: 2608009F
	v_lshrrev_b32_e32 v4, 1, v4                                // 0000000056B8: 20080881
	s_cmp_eq_u32 s88, 0                                        // 0000000056BC: BF068058
	s_cselect_b32 s61, 2, 4                                    // 0000000056C0: 853D8482
	v_mul_lo_u32 v4, v4, s61                                   // 0000000056C4: D2850004 00007B04
	v_and_b32_e64 v5, v0, 1                                    // 0000000056CC: D1130005 00010300
	v_add_u32_e32 v4, v4, v5                                   // 0000000056D4: 68080B04
	v_lshlrev_b32_e32 v4, 2, v4                                // 0000000056D8: 24080882
	v_add_u32_e32 v40, v40, v4                                 // 0000000056DC: 68500928
	v_add_u32_e32 v41, v41, v4                                 // 0000000056E0: 68520929
	v_add_u32_e32 v42, v42, v4                                 // 0000000056E4: 6854092A
	v_add_u32_e32 v43, v43, v4                                 // 0000000056E8: 6856092B
	v_add_u32_e32 v44, v44, v4                                 // 0000000056EC: 6858092C
	v_add_u32_e32 v45, v45, v4                                 // 0000000056F0: 685A092D
	s_waitcnt lgkmcnt(0)                                       // 0000000056F4: BF8CC07F
	s_barrier                                                  // 0000000056F8: BF8A0000
	ds_read_b32 v48, v21                                       // 0000000056FC: D86C0000 30000015
	ds_read_b32 v49, v21 offset:64                             // 000000005704: D86C0040 31000015
	ds_read_b32 v50, v21 offset:2176                           // 00000000570C: D86C0880 32000015
	ds_read_b32 v51, v21 offset:2240                           // 000000005714: D86C08C0 33000015
	ds_read_b32 v52, v21 offset:4352                           // 00000000571C: D86C1100 34000015
	ds_read_b32 v53, v21 offset:4416                           // 000000005724: D86C1140 35000015
	s_waitcnt lgkmcnt(0)                                       // 00000000572C: BF8CC07F
	s_mov_b32 s36, -1                                          // 000000005730: BEA400C1
	s_mov_b32 s37, -1                                          // 000000005734: BEA500C1
	v_mov_b32_e32 v7, 0                                        // 000000005738: 7E0E0280
	s_or_b32 s9, s9, 0x40000                                   // 00000000573C: 8709FF09 00040000
	s_mov_b64 exec, s[36:37]                                   // 000000005744: BEFE0124
	v_mov_b32_e32 v6, v40                                      // 000000005748: 7E0C0328
	s_mov_b64 s[60:61], 0                                      // 00000000574C: BEBC0180
	v_readlane_b32 s82, v3, 0                                  // 000000005750: D2890052 00010103
	s_and_b32 s82, s82, 0xffffff                               // 000000005758: 8652FF52 00FFFFFF
	s_cmp_lt_u32 s82, s66                                      // 000000005760: BF0A4252
	s_cselect_b32 s20, s36, s60                                // 000000005764: 85143C24
	v_readlane_b32 s82, v3, 1                                  // 000000005768: D2890052 00010303
	s_and_b32 s82, s82, 0xffffff                               // 000000005770: 8652FF52 00FFFFFF
	s_cmp_lt_u32 s82, s66                                      // 000000005778: BF0A4252
	s_cselect_b32 s21, s36, s60                                // 00000000577C: 85153C24
	s_mov_b64 exec, s[20:21]                                   // 000000005780: BEFE0114
	buffer_store_dword v48, v6, s[8:11], 0 offen               // 000000005784: E0701000 80023006
	s_mov_b64 exec, s[36:37]                                   // 00000000578C: BEFE0124
	v_mov_b32_e32 v6, v41                                      // 000000005790: 7E0C0329
	s_mov_b64 s[60:61], 0                                      // 000000005794: BEBC0180
	v_readlane_b32 s82, v3, 2                                  // 000000005798: D2890052 00010503
	s_and_b32 s82, s82, 0xffffff                               // 0000000057A0: 8652FF52 00FFFFFF
	s_cmp_lt_u32 s82, s66                                      // 0000000057A8: BF0A4252
	s_cselect_b32 s20, s36, s60                                // 0000000057AC: 85143C24
	v_readlane_b32 s82, v3, 3                                  // 0000000057B0: D2890052 00010703
	s_and_b32 s82, s82, 0xffffff                               // 0000000057B8: 8652FF52 00FFFFFF
	s_cmp_lt_u32 s82, s66                                      // 0000000057C0: BF0A4252
	s_cselect_b32 s21, s36, s60                                // 0000000057C4: 85153C24
	s_mov_b64 exec, s[20:21]                                   // 0000000057C8: BEFE0114
	buffer_store_dword v49, v6, s[8:11], 0 offen               // 0000000057CC: E0701000 80023106
	s_mov_b64 exec, s[36:37]                                   // 0000000057D4: BEFE0124
	v_mov_b32_e32 v6, v42                                      // 0000000057D8: 7E0C032A
	s_mov_b64 s[60:61], 0                                      // 0000000057DC: BEBC0180
	v_readlane_b32 s82, v3, 4                                  // 0000000057E0: D2890052 00010903
	s_and_b32 s82, s82, 0xffffff                               // 0000000057E8: 8652FF52 00FFFFFF
	s_cmp_lt_u32 s82, s66                                      // 0000000057F0: BF0A4252
	s_cselect_b32 s20, s36, s60                                // 0000000057F4: 85143C24
	v_readlane_b32 s82, v3, 5                                  // 0000000057F8: D2890052 00010B03
	s_and_b32 s82, s82, 0xffffff                               // 000000005800: 8652FF52 00FFFFFF
	s_cmp_lt_u32 s82, s66                                      // 000000005808: BF0A4252
	s_cselect_b32 s21, s36, s60                                // 00000000580C: 85153C24
	s_mov_b64 exec, s[20:21]                                   // 000000005810: BEFE0114
	buffer_store_dword v50, v6, s[8:11], 0 offen               // 000000005814: E0701000 80023206
	s_mov_b64 exec, s[36:37]                                   // 00000000581C: BEFE0124
	v_mov_b32_e32 v6, v43                                      // 000000005820: 7E0C032B
	s_mov_b64 s[60:61], 0                                      // 000000005824: BEBC0180
	v_readlane_b32 s82, v3, 6                                  // 000000005828: D2890052 00010D03
	s_and_b32 s82, s82, 0xffffff                               // 000000005830: 8652FF52 00FFFFFF
	s_cmp_lt_u32 s82, s66                                      // 000000005838: BF0A4252
	s_cselect_b32 s20, s36, s60                                // 00000000583C: 85143C24
	v_readlane_b32 s82, v3, 7                                  // 000000005840: D2890052 00010F03
	s_and_b32 s82, s82, 0xffffff                               // 000000005848: 8652FF52 00FFFFFF
	s_cmp_lt_u32 s82, s66                                      // 000000005850: BF0A4252
	s_cselect_b32 s21, s36, s60                                // 000000005854: 85153C24
	s_mov_b64 exec, s[20:21]                                   // 000000005858: BEFE0114
	buffer_store_dword v51, v6, s[8:11], 0 offen               // 00000000585C: E0701000 80023306
	s_mov_b64 exec, s[36:37]                                   // 000000005864: BEFE0124
	v_mov_b32_e32 v6, v44                                      // 000000005868: 7E0C032C
	s_mov_b64 s[60:61], 0                                      // 00000000586C: BEBC0180
	v_readlane_b32 s82, v3, 8                                  // 000000005870: D2890052 00011103
	s_and_b32 s82, s82, 0xffffff                               // 000000005878: 8652FF52 00FFFFFF
	s_cmp_lt_u32 s82, s66                                      // 000000005880: BF0A4252
	s_cselect_b32 s20, s36, s60                                // 000000005884: 85143C24
	v_readlane_b32 s82, v3, 9                                  // 000000005888: D2890052 00011303
	s_and_b32 s82, s82, 0xffffff                               // 000000005890: 8652FF52 00FFFFFF
	s_cmp_lt_u32 s82, s66                                      // 000000005898: BF0A4252
	s_cselect_b32 s21, s36, s60                                // 00000000589C: 85153C24
	s_mov_b64 exec, s[20:21]                                   // 0000000058A0: BEFE0114
	buffer_store_dword v52, v6, s[8:11], 0 offen               // 0000000058A4: E0701000 80023406
	s_mov_b64 exec, s[36:37]                                   // 0000000058AC: BEFE0124
	v_mov_b32_e32 v6, v45                                      // 0000000058B0: 7E0C032D
	s_mov_b64 s[60:61], 0                                      // 0000000058B4: BEBC0180
	v_readlane_b32 s82, v3, 10                                 // 0000000058B8: D2890052 00011503
	s_and_b32 s82, s82, 0xffffff                               // 0000000058C0: 8652FF52 00FFFFFF
	s_cmp_lt_u32 s82, s66                                      // 0000000058C8: BF0A4252
	s_cselect_b32 s20, s36, s60                                // 0000000058CC: 85143C24
	v_readlane_b32 s82, v3, 11                                 // 0000000058D0: D2890052 00011703
	s_and_b32 s82, s82, 0xffffff                               // 0000000058D8: 8652FF52 00FFFFFF
	s_cmp_lt_u32 s82, s66                                      // 0000000058E0: BF0A4252
	s_cselect_b32 s21, s36, s60                                // 0000000058E4: 85153C24
	s_mov_b64 exec, s[20:21]                                   // 0000000058E8: BEFE0114
	buffer_store_dword v53, v6, s[8:11], 0 offen               // 0000000058EC: E0701000 80023506
	s_mov_b64 exec, s[36:37]                                   // 0000000058F4: BEFE0124
	s_branch label_0E68                                        // 0000000058F8: BF8202A6

00000000000058fc <label_0BC2>:
	ds_write_b64 v20, v[48:49]                                 // 0000000058FC: D89A0000 00003014
	ds_write_b64 v20, v[52:53] offset:2176                     // 000000005904: D89A0880 00003414
	ds_write_b64 v20, v[56:57] offset:4352                     // 00000000590C: D89A1100 00003814
	v_lshrrev_b32_e32 v4, 5, v0                                // 000000005914: 20080085
	v_xor_b32_e32 v5, 1, v4                                    // 000000005918: 2A0A0881
	s_mul_i32 s60, s65, 2                                      // 00000000591C: 923C8241
	s_cmp_eq_u32 s88, 0                                        // 000000005920: BF068058
	s_cselect_b32 s61, 1, 4                                    // 000000005924: 853D8481
	s_mul_i32 s60, s61, s60                                    // 000000005928: 923C3C3D
	v_readlane_b32 s82, v3, 0                                  // 00000000592C: D2890052 00010103
	s_lshr_b32 s61, s82, 24                                    // 000000005934: 8F3D9852
	s_and_b32 s82, s82, 0xffffff                               // 000000005938: 8652FF52 00FFFFFF
	s_mul_i32 s82, s82, s71                                    // 000000005940: 92524752
	s_mul_i32 s61, s60, s61                                    // 000000005944: 923D3D3C
	s_add_u32 s82, s82, s61                                    // 000000005948: 80523D52
	v_mul_lo_u32 v6, v5, s82                                   // 00000000594C: D2850006 0000A505
	v_readlane_b32 s82, v3, 1                                  // 000000005954: D2890052 00010303
	s_lshr_b32 s61, s82, 24                                    // 00000000595C: 8F3D9852
	s_and_b32 s82, s82, 0xffffff                               // 000000005960: 8652FF52 00FFFFFF
	s_mul_i32 s82, s82, s71                                    // 000000005968: 92524752
	s_mul_i32 s61, s60, s61                                    // 00000000596C: 923D3D3C
	s_add_u32 s82, s82, s61                                    // 000000005970: 80523D52
	v_mul_lo_u32 v7, v4, s82                                   // 000000005974: D2850007 0000A504
	v_add_u32_e32 v40, v6, v7                                  // 00000000597C: 68500F06
	v_readlane_b32 s82, v3, 2                                  // 000000005980: D2890052 00010503
	s_lshr_b32 s61, s82, 24                                    // 000000005988: 8F3D9852
	s_and_b32 s82, s82, 0xffffff                               // 00000000598C: 8652FF52 00FFFFFF
	s_mul_i32 s82, s82, s71                                    // 000000005994: 92524752
	s_mul_i32 s61, s60, s61                                    // 000000005998: 923D3D3C
	s_add_u32 s82, s82, s61                                    // 00000000599C: 80523D52
	v_mul_lo_u32 v6, v5, s82                                   // 0000000059A0: D2850006 0000A505
	v_readlane_b32 s82, v3, 3                                  // 0000000059A8: D2890052 00010703
	s_lshr_b32 s61, s82, 24                                    // 0000000059B0: 8F3D9852
	s_and_b32 s82, s82, 0xffffff                               // 0000000059B4: 8652FF52 00FFFFFF
	s_mul_i32 s82, s82, s71                                    // 0000000059BC: 92524752
	s_mul_i32 s61, s60, s61                                    // 0000000059C0: 923D3D3C
	s_add_u32 s82, s82, s61                                    // 0000000059C4: 80523D52
	v_mul_lo_u32 v7, v4, s82                                   // 0000000059C8: D2850007 0000A504
	v_add_u32_e32 v41, v6, v7                                  // 0000000059D0: 68520F06
	v_readlane_b32 s82, v3, 4                                  // 0000000059D4: D2890052 00010903
	s_lshr_b32 s61, s82, 24                                    // 0000000059DC: 8F3D9852
	s_and_b32 s82, s82, 0xffffff                               // 0000000059E0: 8652FF52 00FFFFFF
	s_mul_i32 s82, s82, s71                                    // 0000000059E8: 92524752
	s_mul_i32 s61, s60, s61                                    // 0000000059EC: 923D3D3C
	s_add_u32 s82, s82, s61                                    // 0000000059F0: 80523D52
	v_mul_lo_u32 v6, v5, s82                                   // 0000000059F4: D2850006 0000A505
	v_readlane_b32 s82, v3, 5                                  // 0000000059FC: D2890052 00010B03
	s_lshr_b32 s61, s82, 24                                    // 000000005A04: 8F3D9852
	s_and_b32 s82, s82, 0xffffff                               // 000000005A08: 8652FF52 00FFFFFF
	s_mul_i32 s82, s82, s71                                    // 000000005A10: 92524752
	s_mul_i32 s61, s60, s61                                    // 000000005A14: 923D3D3C
	s_add_u32 s82, s82, s61                                    // 000000005A18: 80523D52
	v_mul_lo_u32 v7, v4, s82                                   // 000000005A1C: D2850007 0000A504
	v_add_u32_e32 v42, v6, v7                                  // 000000005A24: 68540F06
	v_readlane_b32 s82, v3, 6                                  // 000000005A28: D2890052 00010D03
	s_lshr_b32 s61, s82, 24                                    // 000000005A30: 8F3D9852
	s_and_b32 s82, s82, 0xffffff                               // 000000005A34: 8652FF52 00FFFFFF
	s_mul_i32 s82, s82, s71                                    // 000000005A3C: 92524752
	s_mul_i32 s61, s60, s61                                    // 000000005A40: 923D3D3C
	s_add_u32 s82, s82, s61                                    // 000000005A44: 80523D52
	v_mul_lo_u32 v6, v5, s82                                   // 000000005A48: D2850006 0000A505
	v_readlane_b32 s82, v3, 7                                  // 000000005A50: D2890052 00010F03
	s_lshr_b32 s61, s82, 24                                    // 000000005A58: 8F3D9852
	s_and_b32 s82, s82, 0xffffff                               // 000000005A5C: 8652FF52 00FFFFFF
	s_mul_i32 s82, s82, s71                                    // 000000005A64: 92524752
	s_mul_i32 s61, s60, s61                                    // 000000005A68: 923D3D3C
	s_add_u32 s82, s82, s61                                    // 000000005A6C: 80523D52
	v_mul_lo_u32 v7, v4, s82                                   // 000000005A70: D2850007 0000A504
	v_add_u32_e32 v43, v6, v7                                  // 000000005A78: 68560F06
	v_readlane_b32 s82, v3, 8                                  // 000000005A7C: D2890052 00011103
	s_lshr_b32 s61, s82, 24                                    // 000000005A84: 8F3D9852
	s_and_b32 s82, s82, 0xffffff                               // 000000005A88: 8652FF52 00FFFFFF
	s_mul_i32 s82, s82, s71                                    // 000000005A90: 92524752
	s_mul_i32 s61, s60, s61                                    // 000000005A94: 923D3D3C
	s_add_u32 s82, s82, s61                                    // 000000005A98: 80523D52
	v_mul_lo_u32 v6, v5, s82                                   // 000000005A9C: D2850006 0000A505
	v_readlane_b32 s82, v3, 9                                  // 000000005AA4: D2890052 00011303
	s_lshr_b32 s61, s82, 24                                    // 000000005AAC: 8F3D9852
	s_and_b32 s82, s82, 0xffffff                               // 000000005AB0: 8652FF52 00FFFFFF
	s_mul_i32 s82, s82, s71                                    // 000000005AB8: 92524752
	s_mul_i32 s61, s60, s61                                    // 000000005ABC: 923D3D3C
	s_add_u32 s82, s82, s61                                    // 000000005AC0: 80523D52
	v_mul_lo_u32 v7, v4, s82                                   // 000000005AC4: D2850007 0000A504
	v_add_u32_e32 v44, v6, v7                                  // 000000005ACC: 68580F06
	v_readlane_b32 s82, v3, 10                                 // 000000005AD0: D2890052 00011503
	s_lshr_b32 s61, s82, 24                                    // 000000005AD8: 8F3D9852
	s_and_b32 s82, s82, 0xffffff                               // 000000005ADC: 8652FF52 00FFFFFF
	s_mul_i32 s82, s82, s71                                    // 000000005AE4: 92524752
	s_mul_i32 s61, s60, s61                                    // 000000005AE8: 923D3D3C
	s_add_u32 s82, s82, s61                                    // 000000005AEC: 80523D52
	v_mul_lo_u32 v6, v5, s82                                   // 000000005AF0: D2850006 0000A505
	v_readlane_b32 s82, v3, 11                                 // 000000005AF8: D2890052 00011703
	s_lshr_b32 s61, s82, 24                                    // 000000005B00: 8F3D9852
	s_and_b32 s82, s82, 0xffffff                               // 000000005B04: 8652FF52 00FFFFFF
	s_mul_i32 s82, s82, s71                                    // 000000005B0C: 92524752
	s_mul_i32 s61, s60, s61                                    // 000000005B10: 923D3D3C
	s_add_u32 s82, s82, s61                                    // 000000005B14: 80523D52
	v_mul_lo_u32 v7, v4, s82                                   // 000000005B18: D2850007 0000A504
	v_add_u32_e32 v45, v6, v7                                  // 000000005B20: 685A0F06
	v_and_b32_e32 v4, 31, v0                                   // 000000005B24: 2608009F
	v_lshrrev_b32_e32 v4, 1, v4                                // 000000005B28: 20080881
	s_cmp_eq_u32 s88, 0                                        // 000000005B2C: BF068058
	s_cselect_b32 s61, 2, 4                                    // 000000005B30: 853D8482
	v_mul_lo_u32 v4, v4, s61                                   // 000000005B34: D2850004 00007B04
	v_and_b32_e64 v5, v0, 1                                    // 000000005B3C: D1130005 00010300
	v_add_u32_e32 v4, v4, v5                                   // 000000005B44: 68080B04
	v_lshlrev_b32_e32 v4, 2, v4                                // 000000005B48: 24080882
	v_add_u32_e32 v40, v40, v4                                 // 000000005B4C: 68500928
	v_add_u32_e32 v41, v41, v4                                 // 000000005B50: 68520929
	v_add_u32_e32 v42, v42, v4                                 // 000000005B54: 6854092A
	v_add_u32_e32 v43, v43, v4                                 // 000000005B58: 6856092B
	v_add_u32_e32 v44, v44, v4                                 // 000000005B5C: 6858092C
	v_add_u32_e32 v45, v45, v4                                 // 000000005B60: 685A092D
	s_waitcnt lgkmcnt(0)                                       // 000000005B64: BF8CC07F
	s_barrier                                                  // 000000005B68: BF8A0000
	ds_read_b32 v48, v21                                       // 000000005B6C: D86C0000 30000015
	ds_read_b32 v49, v21 offset:64                             // 000000005B74: D86C0040 31000015
	ds_read_b32 v52, v21 offset:2176                           // 000000005B7C: D86C0880 34000015
	ds_read_b32 v53, v21 offset:2240                           // 000000005B84: D86C08C0 35000015
	ds_read_b32 v56, v21 offset:4352                           // 000000005B8C: D86C1100 38000015
	ds_read_b32 v57, v21 offset:4416                           // 000000005B94: D86C1140 39000015
	s_waitcnt lgkmcnt(0)                                       // 000000005B9C: BF8CC07F
	s_mov_b32 s36, -1                                          // 000000005BA0: BEA400C1
	s_mov_b32 s37, -1                                          // 000000005BA4: BEA500C1
	v_mov_b32_e32 v7, 0                                        // 000000005BA8: 7E0E0280
	s_mov_b64 exec, s[36:37]                                   // 000000005BAC: BEFE0124
	v_mov_b32_e32 v6, v40                                      // 000000005BB0: 7E0C0328
	s_mov_b64 s[60:61], 0                                      // 000000005BB4: BEBC0180
	v_readlane_b32 s82, v3, 0                                  // 000000005BB8: D2890052 00010103
	s_and_b32 s82, s82, 0xffffff                               // 000000005BC0: 8652FF52 00FFFFFF
	s_cmp_lt_u32 s82, s66                                      // 000000005BC8: BF0A4252
	s_cselect_b32 s20, s36, s60                                // 000000005BCC: 85143C24
	v_readlane_b32 s82, v3, 1                                  // 000000005BD0: D2890052 00010303
	s_and_b32 s82, s82, 0xffffff                               // 000000005BD8: 8652FF52 00FFFFFF
	s_cmp_lt_u32 s82, s66                                      // 000000005BE0: BF0A4252
	s_cselect_b32 s21, s36, s60                                // 000000005BE4: 85153C24
	s_mov_b64 exec, s[20:21]                                   // 000000005BE8: BEFE0114
	global_atomic_add_f32 v6, v48, s[8:9]                      // 000000005BEC: DD348000 00083006
	s_mov_b64 exec, s[36:37]                                   // 000000005BF4: BEFE0124
	v_mov_b32_e32 v6, v41                                      // 000000005BF8: 7E0C0329
	s_mov_b64 s[60:61], 0                                      // 000000005BFC: BEBC0180
	v_readlane_b32 s82, v3, 2                                  // 000000005C00: D2890052 00010503
	s_and_b32 s82, s82, 0xffffff                               // 000000005C08: 8652FF52 00FFFFFF
	s_cmp_lt_u32 s82, s66                                      // 000000005C10: BF0A4252
	s_cselect_b32 s20, s36, s60                                // 000000005C14: 85143C24
	v_readlane_b32 s82, v3, 3                                  // 000000005C18: D2890052 00010703
	s_and_b32 s82, s82, 0xffffff                               // 000000005C20: 8652FF52 00FFFFFF
	s_cmp_lt_u32 s82, s66                                      // 000000005C28: BF0A4252
	s_cselect_b32 s21, s36, s60                                // 000000005C2C: 85153C24
	s_mov_b64 exec, s[20:21]                                   // 000000005C30: BEFE0114
	global_atomic_add_f32 v6, v49, s[8:9]                      // 000000005C34: DD348000 00083106
	s_mov_b64 exec, s[36:37]                                   // 000000005C3C: BEFE0124
	v_mov_b32_e32 v6, v42                                      // 000000005C40: 7E0C032A
	s_mov_b64 s[60:61], 0                                      // 000000005C44: BEBC0180
	v_readlane_b32 s82, v3, 4                                  // 000000005C48: D2890052 00010903
	s_and_b32 s82, s82, 0xffffff                               // 000000005C50: 8652FF52 00FFFFFF
	s_cmp_lt_u32 s82, s66                                      // 000000005C58: BF0A4252
	s_cselect_b32 s20, s36, s60                                // 000000005C5C: 85143C24
	v_readlane_b32 s82, v3, 5                                  // 000000005C60: D2890052 00010B03
	s_and_b32 s82, s82, 0xffffff                               // 000000005C68: 8652FF52 00FFFFFF
	s_cmp_lt_u32 s82, s66                                      // 000000005C70: BF0A4252
	s_cselect_b32 s21, s36, s60                                // 000000005C74: 85153C24
	s_mov_b64 exec, s[20:21]                                   // 000000005C78: BEFE0114
	global_atomic_add_f32 v6, v52, s[8:9]                      // 000000005C7C: DD348000 00083406
	s_mov_b64 exec, s[36:37]                                   // 000000005C84: BEFE0124
	v_mov_b32_e32 v6, v43                                      // 000000005C88: 7E0C032B
	s_mov_b64 s[60:61], 0                                      // 000000005C8C: BEBC0180
	v_readlane_b32 s82, v3, 6                                  // 000000005C90: D2890052 00010D03
	s_and_b32 s82, s82, 0xffffff                               // 000000005C98: 8652FF52 00FFFFFF
	s_cmp_lt_u32 s82, s66                                      // 000000005CA0: BF0A4252
	s_cselect_b32 s20, s36, s60                                // 000000005CA4: 85143C24
	v_readlane_b32 s82, v3, 7                                  // 000000005CA8: D2890052 00010F03
	s_and_b32 s82, s82, 0xffffff                               // 000000005CB0: 8652FF52 00FFFFFF
	s_cmp_lt_u32 s82, s66                                      // 000000005CB8: BF0A4252
	s_cselect_b32 s21, s36, s60                                // 000000005CBC: 85153C24
	s_mov_b64 exec, s[20:21]                                   // 000000005CC0: BEFE0114
	global_atomic_add_f32 v6, v53, s[8:9]                      // 000000005CC4: DD348000 00083506
	s_mov_b64 exec, s[36:37]                                   // 000000005CCC: BEFE0124
	v_mov_b32_e32 v6, v44                                      // 000000005CD0: 7E0C032C
	s_mov_b64 s[60:61], 0                                      // 000000005CD4: BEBC0180
	v_readlane_b32 s82, v3, 8                                  // 000000005CD8: D2890052 00011103
	s_and_b32 s82, s82, 0xffffff                               // 000000005CE0: 8652FF52 00FFFFFF
	s_cmp_lt_u32 s82, s66                                      // 000000005CE8: BF0A4252
	s_cselect_b32 s20, s36, s60                                // 000000005CEC: 85143C24
	v_readlane_b32 s82, v3, 9                                  // 000000005CF0: D2890052 00011303
	s_and_b32 s82, s82, 0xffffff                               // 000000005CF8: 8652FF52 00FFFFFF
	s_cmp_lt_u32 s82, s66                                      // 000000005D00: BF0A4252
	s_cselect_b32 s21, s36, s60                                // 000000005D04: 85153C24
	s_mov_b64 exec, s[20:21]                                   // 000000005D08: BEFE0114
	global_atomic_add_f32 v6, v56, s[8:9]                      // 000000005D0C: DD348000 00083806
	s_mov_b64 exec, s[36:37]                                   // 000000005D14: BEFE0124
	v_mov_b32_e32 v6, v45                                      // 000000005D18: 7E0C032D
	s_mov_b64 s[60:61], 0                                      // 000000005D1C: BEBC0180
	v_readlane_b32 s82, v3, 10                                 // 000000005D20: D2890052 00011503
	s_and_b32 s82, s82, 0xffffff                               // 000000005D28: 8652FF52 00FFFFFF
	s_cmp_lt_u32 s82, s66                                      // 000000005D30: BF0A4252
	s_cselect_b32 s20, s36, s60                                // 000000005D34: 85143C24
	v_readlane_b32 s82, v3, 11                                 // 000000005D38: D2890052 00011703
	s_and_b32 s82, s82, 0xffffff                               // 000000005D40: 8652FF52 00FFFFFF
	s_cmp_lt_u32 s82, s66                                      // 000000005D48: BF0A4252
	s_cselect_b32 s21, s36, s60                                // 000000005D4C: 85153C24
	s_mov_b64 exec, s[20:21]                                   // 000000005D50: BEFE0114
	global_atomic_add_f32 v6, v57, s[8:9]                      // 000000005D54: DD348000 00083906
	s_mov_b64 exec, s[36:37]                                   // 000000005D5C: BEFE0124
	ds_write_b64 v20, v[50:51]                                 // 000000005D60: D89A0000 00003214
	ds_write_b64 v20, v[54:55] offset:2176                     // 000000005D68: D89A0880 00003614
	ds_write_b64 v20, v[58:59] offset:4352                     // 000000005D70: D89A1100 00003A14
	s_waitcnt lgkmcnt(0)                                       // 000000005D78: BF8CC07F
	s_barrier                                                  // 000000005D7C: BF8A0000
	ds_read_b32 v50, v21                                       // 000000005D80: D86C0000 32000015
	ds_read_b32 v51, v21 offset:64                             // 000000005D88: D86C0040 33000015
	ds_read_b32 v54, v21 offset:2176                           // 000000005D90: D86C0880 36000015
	ds_read_b32 v55, v21 offset:2240                           // 000000005D98: D86C08C0 37000015
	ds_read_b32 v58, v21 offset:4352                           // 000000005DA0: D86C1100 3A000015
	ds_read_b32 v59, v21 offset:4416                           // 000000005DA8: D86C1140 3B000015
	s_waitcnt lgkmcnt(0)                                       // 000000005DB0: BF8CC07F
	v_mov_b32_e32 v7, 0                                        // 000000005DB4: 7E0E0280
	s_mov_b64 exec, s[36:37]                                   // 000000005DB8: BEFE0124
	v_mov_b32_e32 v6, v40                                      // 000000005DBC: 7E0C0328
	s_mov_b64 s[60:61], 0                                      // 000000005DC0: BEBC0180
	v_readlane_b32 s82, v3, 0                                  // 000000005DC4: D2890052 00010103
	s_and_b32 s82, s82, 0xffffff                               // 000000005DCC: 8652FF52 00FFFFFF
	s_cmp_lt_u32 s82, s66                                      // 000000005DD4: BF0A4252
	s_cselect_b32 s20, s36, s60                                // 000000005DD8: 85143C24
	v_readlane_b32 s82, v3, 1                                  // 000000005DDC: D2890052 00010303
	s_and_b32 s82, s82, 0xffffff                               // 000000005DE4: 8652FF52 00FFFFFF
	s_cmp_lt_u32 s82, s66                                      // 000000005DEC: BF0A4252
	s_cselect_b32 s21, s36, s60                                // 000000005DF0: 85153C24
	s_mov_b64 exec, s[20:21]                                   // 000000005DF4: BEFE0114
	global_atomic_add_f32 v6, v50, s[8:9] offset:8             // 000000005DF8: DD348008 00083206
	s_mov_b64 exec, s[36:37]                                   // 000000005E00: BEFE0124
	v_mov_b32_e32 v6, v41                                      // 000000005E04: 7E0C0329
	s_mov_b64 s[60:61], 0                                      // 000000005E08: BEBC0180
	v_readlane_b32 s82, v3, 2                                  // 000000005E0C: D2890052 00010503
	s_and_b32 s82, s82, 0xffffff                               // 000000005E14: 8652FF52 00FFFFFF
	s_cmp_lt_u32 s82, s66                                      // 000000005E1C: BF0A4252
	s_cselect_b32 s20, s36, s60                                // 000000005E20: 85143C24
	v_readlane_b32 s82, v3, 3                                  // 000000005E24: D2890052 00010703
	s_and_b32 s82, s82, 0xffffff                               // 000000005E2C: 8652FF52 00FFFFFF
	s_cmp_lt_u32 s82, s66                                      // 000000005E34: BF0A4252
	s_cselect_b32 s21, s36, s60                                // 000000005E38: 85153C24
	s_mov_b64 exec, s[20:21]                                   // 000000005E3C: BEFE0114
	global_atomic_add_f32 v6, v51, s[8:9] offset:8             // 000000005E40: DD348008 00083306
	s_mov_b64 exec, s[36:37]                                   // 000000005E48: BEFE0124
	v_mov_b32_e32 v6, v42                                      // 000000005E4C: 7E0C032A
	s_mov_b64 s[60:61], 0                                      // 000000005E50: BEBC0180
	v_readlane_b32 s82, v3, 4                                  // 000000005E54: D2890052 00010903
	s_and_b32 s82, s82, 0xffffff                               // 000000005E5C: 8652FF52 00FFFFFF
	s_cmp_lt_u32 s82, s66                                      // 000000005E64: BF0A4252
	s_cselect_b32 s20, s36, s60                                // 000000005E68: 85143C24
	v_readlane_b32 s82, v3, 5                                  // 000000005E6C: D2890052 00010B03
	s_and_b32 s82, s82, 0xffffff                               // 000000005E74: 8652FF52 00FFFFFF
	s_cmp_lt_u32 s82, s66                                      // 000000005E7C: BF0A4252
	s_cselect_b32 s21, s36, s60                                // 000000005E80: 85153C24
	s_mov_b64 exec, s[20:21]                                   // 000000005E84: BEFE0114
	global_atomic_add_f32 v6, v54, s[8:9] offset:8             // 000000005E88: DD348008 00083606
	s_mov_b64 exec, s[36:37]                                   // 000000005E90: BEFE0124
	v_mov_b32_e32 v6, v43                                      // 000000005E94: 7E0C032B
	s_mov_b64 s[60:61], 0                                      // 000000005E98: BEBC0180
	v_readlane_b32 s82, v3, 6                                  // 000000005E9C: D2890052 00010D03
	s_and_b32 s82, s82, 0xffffff                               // 000000005EA4: 8652FF52 00FFFFFF
	s_cmp_lt_u32 s82, s66                                      // 000000005EAC: BF0A4252
	s_cselect_b32 s20, s36, s60                                // 000000005EB0: 85143C24
	v_readlane_b32 s82, v3, 7                                  // 000000005EB4: D2890052 00010F03
	s_and_b32 s82, s82, 0xffffff                               // 000000005EBC: 8652FF52 00FFFFFF
	s_cmp_lt_u32 s82, s66                                      // 000000005EC4: BF0A4252
	s_cselect_b32 s21, s36, s60                                // 000000005EC8: 85153C24
	s_mov_b64 exec, s[20:21]                                   // 000000005ECC: BEFE0114
	global_atomic_add_f32 v6, v55, s[8:9] offset:8             // 000000005ED0: DD348008 00083706
	s_mov_b64 exec, s[36:37]                                   // 000000005ED8: BEFE0124
	v_mov_b32_e32 v6, v44                                      // 000000005EDC: 7E0C032C
	s_mov_b64 s[60:61], 0                                      // 000000005EE0: BEBC0180
	v_readlane_b32 s82, v3, 8                                  // 000000005EE4: D2890052 00011103
	s_and_b32 s82, s82, 0xffffff                               // 000000005EEC: 8652FF52 00FFFFFF
	s_cmp_lt_u32 s82, s66                                      // 000000005EF4: BF0A4252
	s_cselect_b32 s20, s36, s60                                // 000000005EF8: 85143C24
	v_readlane_b32 s82, v3, 9                                  // 000000005EFC: D2890052 00011303
	s_and_b32 s82, s82, 0xffffff                               // 000000005F04: 8652FF52 00FFFFFF
	s_cmp_lt_u32 s82, s66                                      // 000000005F0C: BF0A4252
	s_cselect_b32 s21, s36, s60                                // 000000005F10: 85153C24
	s_mov_b64 exec, s[20:21]                                   // 000000005F14: BEFE0114
	global_atomic_add_f32 v6, v58, s[8:9] offset:8             // 000000005F18: DD348008 00083A06
	s_mov_b64 exec, s[36:37]                                   // 000000005F20: BEFE0124
	v_mov_b32_e32 v6, v45                                      // 000000005F24: 7E0C032D
	s_mov_b64 s[60:61], 0                                      // 000000005F28: BEBC0180
	v_readlane_b32 s82, v3, 10                                 // 000000005F2C: D2890052 00011503
	s_and_b32 s82, s82, 0xffffff                               // 000000005F34: 8652FF52 00FFFFFF
	s_cmp_lt_u32 s82, s66                                      // 000000005F3C: BF0A4252
	s_cselect_b32 s20, s36, s60                                // 000000005F40: 85143C24
	v_readlane_b32 s82, v3, 11                                 // 000000005F44: D2890052 00011703
	s_and_b32 s82, s82, 0xffffff                               // 000000005F4C: 8652FF52 00FFFFFF
	s_cmp_lt_u32 s82, s66                                      // 000000005F54: BF0A4252
	s_cselect_b32 s21, s36, s60                                // 000000005F58: 85153C24
	s_mov_b64 exec, s[20:21]                                   // 000000005F5C: BEFE0114
	global_atomic_add_f32 v6, v59, s[8:9] offset:8             // 000000005F60: DD348008 00083B06
	s_mov_b64 exec, s[36:37]                                   // 000000005F68: BEFE0124
	ds_write_b64 v20, v[60:61]                                 // 000000005F6C: D89A0000 00003C14
	ds_write_b64 v20, v[64:65] offset:2176                     // 000000005F74: D89A0880 00004014
	ds_write_b64 v20, v[68:69] offset:4352                     // 000000005F7C: D89A1100 00004414
	s_waitcnt lgkmcnt(0)                                       // 000000005F84: BF8CC07F
	s_barrier                                                  // 000000005F88: BF8A0000
	ds_read_b32 v60, v21                                       // 000000005F8C: D86C0000 3C000015
	ds_read_b32 v61, v21 offset:64                             // 000000005F94: D86C0040 3D000015
	ds_read_b32 v64, v21 offset:2176                           // 000000005F9C: D86C0880 40000015
	ds_read_b32 v65, v21 offset:2240                           // 000000005FA4: D86C08C0 41000015
	ds_read_b32 v68, v21 offset:4352                           // 000000005FAC: D86C1100 44000015
	ds_read_b32 v69, v21 offset:4416                           // 000000005FB4: D86C1140 45000015
	s_mul_i32 s60, s65, 4                                      // 000000005FBC: 923C8441
	s_add_u32 s8, s60, s8                                      // 000000005FC0: 8008083C
	s_addc_u32 s9, 0, s9                                       // 000000005FC4: 82090980
	s_waitcnt lgkmcnt(0)                                       // 000000005FC8: BF8CC07F
	v_mov_b32_e32 v7, 0                                        // 000000005FCC: 7E0E0280
	s_mov_b64 exec, s[36:37]                                   // 000000005FD0: BEFE0124
	v_mov_b32_e32 v6, v40                                      // 000000005FD4: 7E0C0328
	s_mov_b64 s[60:61], 0                                      // 000000005FD8: BEBC0180
	v_readlane_b32 s82, v3, 0                                  // 000000005FDC: D2890052 00010103
	s_and_b32 s82, s82, 0xffffff                               // 000000005FE4: 8652FF52 00FFFFFF
	s_cmp_lt_u32 s82, s66                                      // 000000005FEC: BF0A4252
	s_cselect_b32 s20, s36, s60                                // 000000005FF0: 85143C24
	v_readlane_b32 s82, v3, 1                                  // 000000005FF4: D2890052 00010303
	s_and_b32 s82, s82, 0xffffff                               // 000000005FFC: 8652FF52 00FFFFFF
	s_cmp_lt_u32 s82, s66                                      // 000000006004: BF0A4252
	s_cselect_b32 s21, s36, s60                                // 000000006008: 85153C24
	s_mov_b64 exec, s[20:21]                                   // 00000000600C: BEFE0114
	global_atomic_add_f32 v6, v60, s[8:9]                      // 000000006010: DD348000 00083C06
	s_mov_b64 exec, s[36:37]                                   // 000000006018: BEFE0124
	v_mov_b32_e32 v6, v41                                      // 00000000601C: 7E0C0329
	s_mov_b64 s[60:61], 0                                      // 000000006020: BEBC0180
	v_readlane_b32 s82, v3, 2                                  // 000000006024: D2890052 00010503
	s_and_b32 s82, s82, 0xffffff                               // 00000000602C: 8652FF52 00FFFFFF
	s_cmp_lt_u32 s82, s66                                      // 000000006034: BF0A4252
	s_cselect_b32 s20, s36, s60                                // 000000006038: 85143C24
	v_readlane_b32 s82, v3, 3                                  // 00000000603C: D2890052 00010703
	s_and_b32 s82, s82, 0xffffff                               // 000000006044: 8652FF52 00FFFFFF
	s_cmp_lt_u32 s82, s66                                      // 00000000604C: BF0A4252
	s_cselect_b32 s21, s36, s60                                // 000000006050: 85153C24
	s_mov_b64 exec, s[20:21]                                   // 000000006054: BEFE0114
	global_atomic_add_f32 v6, v61, s[8:9]                      // 000000006058: DD348000 00083D06
	s_mov_b64 exec, s[36:37]                                   // 000000006060: BEFE0124
	v_mov_b32_e32 v6, v42                                      // 000000006064: 7E0C032A
	s_mov_b64 s[60:61], 0                                      // 000000006068: BEBC0180
	v_readlane_b32 s82, v3, 4                                  // 00000000606C: D2890052 00010903
	s_and_b32 s82, s82, 0xffffff                               // 000000006074: 8652FF52 00FFFFFF
	s_cmp_lt_u32 s82, s66                                      // 00000000607C: BF0A4252
	s_cselect_b32 s20, s36, s60                                // 000000006080: 85143C24
	v_readlane_b32 s82, v3, 5                                  // 000000006084: D2890052 00010B03
	s_and_b32 s82, s82, 0xffffff                               // 00000000608C: 8652FF52 00FFFFFF
	s_cmp_lt_u32 s82, s66                                      // 000000006094: BF0A4252
	s_cselect_b32 s21, s36, s60                                // 000000006098: 85153C24
	s_mov_b64 exec, s[20:21]                                   // 00000000609C: BEFE0114
	global_atomic_add_f32 v6, v64, s[8:9]                      // 0000000060A0: DD348000 00084006
	s_mov_b64 exec, s[36:37]                                   // 0000000060A8: BEFE0124
	v_mov_b32_e32 v6, v43                                      // 0000000060AC: 7E0C032B
	s_mov_b64 s[60:61], 0                                      // 0000000060B0: BEBC0180
	v_readlane_b32 s82, v3, 6                                  // 0000000060B4: D2890052 00010D03
	s_and_b32 s82, s82, 0xffffff                               // 0000000060BC: 8652FF52 00FFFFFF
	s_cmp_lt_u32 s82, s66                                      // 0000000060C4: BF0A4252
	s_cselect_b32 s20, s36, s60                                // 0000000060C8: 85143C24
	v_readlane_b32 s82, v3, 7                                  // 0000000060CC: D2890052 00010F03
	s_and_b32 s82, s82, 0xffffff                               // 0000000060D4: 8652FF52 00FFFFFF
	s_cmp_lt_u32 s82, s66                                      // 0000000060DC: BF0A4252
	s_cselect_b32 s21, s36, s60                                // 0000000060E0: 85153C24
	s_mov_b64 exec, s[20:21]                                   // 0000000060E4: BEFE0114
	global_atomic_add_f32 v6, v65, s[8:9]                      // 0000000060E8: DD348000 00084106
	s_mov_b64 exec, s[36:37]                                   // 0000000060F0: BEFE0124
	v_mov_b32_e32 v6, v44                                      // 0000000060F4: 7E0C032C
	s_mov_b64 s[60:61], 0                                      // 0000000060F8: BEBC0180
	v_readlane_b32 s82, v3, 8                                  // 0000000060FC: D2890052 00011103
	s_and_b32 s82, s82, 0xffffff                               // 000000006104: 8652FF52 00FFFFFF
	s_cmp_lt_u32 s82, s66                                      // 00000000610C: BF0A4252
	s_cselect_b32 s20, s36, s60                                // 000000006110: 85143C24
	v_readlane_b32 s82, v3, 9                                  // 000000006114: D2890052 00011303
	s_and_b32 s82, s82, 0xffffff                               // 00000000611C: 8652FF52 00FFFFFF
	s_cmp_lt_u32 s82, s66                                      // 000000006124: BF0A4252
	s_cselect_b32 s21, s36, s60                                // 000000006128: 85153C24
	s_mov_b64 exec, s[20:21]                                   // 00000000612C: BEFE0114
	global_atomic_add_f32 v6, v68, s[8:9]                      // 000000006130: DD348000 00084406
	s_mov_b64 exec, s[36:37]                                   // 000000006138: BEFE0124
	v_mov_b32_e32 v6, v45                                      // 00000000613C: 7E0C032D
	s_mov_b64 s[60:61], 0                                      // 000000006140: BEBC0180
	v_readlane_b32 s82, v3, 10                                 // 000000006144: D2890052 00011503
	s_and_b32 s82, s82, 0xffffff                               // 00000000614C: 8652FF52 00FFFFFF
	s_cmp_lt_u32 s82, s66                                      // 000000006154: BF0A4252
	s_cselect_b32 s20, s36, s60                                // 000000006158: 85143C24
	v_readlane_b32 s82, v3, 11                                 // 00000000615C: D2890052 00011703
	s_and_b32 s82, s82, 0xffffff                               // 000000006164: 8652FF52 00FFFFFF
	s_cmp_lt_u32 s82, s66                                      // 00000000616C: BF0A4252
	s_cselect_b32 s21, s36, s60                                // 000000006170: 85153C24
	s_mov_b64 exec, s[20:21]                                   // 000000006174: BEFE0114
	global_atomic_add_f32 v6, v69, s[8:9]                      // 000000006178: DD348000 00084506
	s_mov_b64 exec, s[36:37]                                   // 000000006180: BEFE0124
	ds_write_b64 v20, v[62:63]                                 // 000000006184: D89A0000 00003E14
	ds_write_b64 v20, v[66:67] offset:2176                     // 00000000618C: D89A0880 00004214
	ds_write_b64 v20, v[70:71] offset:4352                     // 000000006194: D89A1100 00004614
	s_waitcnt lgkmcnt(0)                                       // 00000000619C: BF8CC07F
	s_barrier                                                  // 0000000061A0: BF8A0000
	ds_read_b32 v62, v21                                       // 0000000061A4: D86C0000 3E000015
	ds_read_b32 v63, v21 offset:64                             // 0000000061AC: D86C0040 3F000015
	ds_read_b32 v66, v21 offset:2176                           // 0000000061B4: D86C0880 42000015
	ds_read_b32 v67, v21 offset:2240                           // 0000000061BC: D86C08C0 43000015
	ds_read_b32 v70, v21 offset:4352                           // 0000000061C4: D86C1100 46000015
	ds_read_b32 v71, v21 offset:4416                           // 0000000061CC: D86C1140 47000015
	s_waitcnt lgkmcnt(0)                                       // 0000000061D4: BF8CC07F
	v_mov_b32_e32 v7, 0                                        // 0000000061D8: 7E0E0280
	s_mov_b64 exec, s[36:37]                                   // 0000000061DC: BEFE0124
	v_mov_b32_e32 v6, v40                                      // 0000000061E0: 7E0C0328
	s_mov_b64 s[60:61], 0                                      // 0000000061E4: BEBC0180
	v_readlane_b32 s82, v3, 0                                  // 0000000061E8: D2890052 00010103
	s_and_b32 s82, s82, 0xffffff                               // 0000000061F0: 8652FF52 00FFFFFF
	s_cmp_lt_u32 s82, s66                                      // 0000000061F8: BF0A4252
	s_cselect_b32 s20, s36, s60                                // 0000000061FC: 85143C24
	v_readlane_b32 s82, v3, 1                                  // 000000006200: D2890052 00010303
	s_and_b32 s82, s82, 0xffffff                               // 000000006208: 8652FF52 00FFFFFF
	s_cmp_lt_u32 s82, s66                                      // 000000006210: BF0A4252
	s_cselect_b32 s21, s36, s60                                // 000000006214: 85153C24
	s_mov_b64 exec, s[20:21]                                   // 000000006218: BEFE0114
	global_atomic_add_f32 v6, v62, s[8:9] offset:8             // 00000000621C: DD348008 00083E06
	s_mov_b64 exec, s[36:37]                                   // 000000006224: BEFE0124
	v_mov_b32_e32 v6, v41                                      // 000000006228: 7E0C0329
	s_mov_b64 s[60:61], 0                                      // 00000000622C: BEBC0180
	v_readlane_b32 s82, v3, 2                                  // 000000006230: D2890052 00010503
	s_and_b32 s82, s82, 0xffffff                               // 000000006238: 8652FF52 00FFFFFF
	s_cmp_lt_u32 s82, s66                                      // 000000006240: BF0A4252
	s_cselect_b32 s20, s36, s60                                // 000000006244: 85143C24
	v_readlane_b32 s82, v3, 3                                  // 000000006248: D2890052 00010703
	s_and_b32 s82, s82, 0xffffff                               // 000000006250: 8652FF52 00FFFFFF
	s_cmp_lt_u32 s82, s66                                      // 000000006258: BF0A4252
	s_cselect_b32 s21, s36, s60                                // 00000000625C: 85153C24
	s_mov_b64 exec, s[20:21]                                   // 000000006260: BEFE0114
	global_atomic_add_f32 v6, v63, s[8:9] offset:8             // 000000006264: DD348008 00083F06
	s_mov_b64 exec, s[36:37]                                   // 00000000626C: BEFE0124
	v_mov_b32_e32 v6, v42                                      // 000000006270: 7E0C032A
	s_mov_b64 s[60:61], 0                                      // 000000006274: BEBC0180
	v_readlane_b32 s82, v3, 4                                  // 000000006278: D2890052 00010903
	s_and_b32 s82, s82, 0xffffff                               // 000000006280: 8652FF52 00FFFFFF
	s_cmp_lt_u32 s82, s66                                      // 000000006288: BF0A4252
	s_cselect_b32 s20, s36, s60                                // 00000000628C: 85143C24
	v_readlane_b32 s82, v3, 5                                  // 000000006290: D2890052 00010B03
	s_and_b32 s82, s82, 0xffffff                               // 000000006298: 8652FF52 00FFFFFF
	s_cmp_lt_u32 s82, s66                                      // 0000000062A0: BF0A4252
	s_cselect_b32 s21, s36, s60                                // 0000000062A4: 85153C24
	s_mov_b64 exec, s[20:21]                                   // 0000000062A8: BEFE0114
	global_atomic_add_f32 v6, v66, s[8:9] offset:8             // 0000000062AC: DD348008 00084206
	s_mov_b64 exec, s[36:37]                                   // 0000000062B4: BEFE0124
	v_mov_b32_e32 v6, v43                                      // 0000000062B8: 7E0C032B
	s_mov_b64 s[60:61], 0                                      // 0000000062BC: BEBC0180
	v_readlane_b32 s82, v3, 6                                  // 0000000062C0: D2890052 00010D03
	s_and_b32 s82, s82, 0xffffff                               // 0000000062C8: 8652FF52 00FFFFFF
	s_cmp_lt_u32 s82, s66                                      // 0000000062D0: BF0A4252
	s_cselect_b32 s20, s36, s60                                // 0000000062D4: 85143C24
	v_readlane_b32 s82, v3, 7                                  // 0000000062D8: D2890052 00010F03
	s_and_b32 s82, s82, 0xffffff                               // 0000000062E0: 8652FF52 00FFFFFF
	s_cmp_lt_u32 s82, s66                                      // 0000000062E8: BF0A4252
	s_cselect_b32 s21, s36, s60                                // 0000000062EC: 85153C24
	s_mov_b64 exec, s[20:21]                                   // 0000000062F0: BEFE0114
	global_atomic_add_f32 v6, v67, s[8:9] offset:8             // 0000000062F4: DD348008 00084306
	s_mov_b64 exec, s[36:37]                                   // 0000000062FC: BEFE0124
	v_mov_b32_e32 v6, v44                                      // 000000006300: 7E0C032C
	s_mov_b64 s[60:61], 0                                      // 000000006304: BEBC0180
	v_readlane_b32 s82, v3, 8                                  // 000000006308: D2890052 00011103
	s_and_b32 s82, s82, 0xffffff                               // 000000006310: 8652FF52 00FFFFFF
	s_cmp_lt_u32 s82, s66                                      // 000000006318: BF0A4252
	s_cselect_b32 s20, s36, s60                                // 00000000631C: 85143C24
	v_readlane_b32 s82, v3, 9                                  // 000000006320: D2890052 00011303
	s_and_b32 s82, s82, 0xffffff                               // 000000006328: 8652FF52 00FFFFFF
	s_cmp_lt_u32 s82, s66                                      // 000000006330: BF0A4252
	s_cselect_b32 s21, s36, s60                                // 000000006334: 85153C24
	s_mov_b64 exec, s[20:21]                                   // 000000006338: BEFE0114
	global_atomic_add_f32 v6, v70, s[8:9] offset:8             // 00000000633C: DD348008 00084606
	s_mov_b64 exec, s[36:37]                                   // 000000006344: BEFE0124
	v_mov_b32_e32 v6, v45                                      // 000000006348: 7E0C032D
	s_mov_b64 s[60:61], 0                                      // 00000000634C: BEBC0180
	v_readlane_b32 s82, v3, 10                                 // 000000006350: D2890052 00011503
	s_and_b32 s82, s82, 0xffffff                               // 000000006358: 8652FF52 00FFFFFF
	s_cmp_lt_u32 s82, s66                                      // 000000006360: BF0A4252
	s_cselect_b32 s20, s36, s60                                // 000000006364: 85143C24
	v_readlane_b32 s82, v3, 11                                 // 000000006368: D2890052 00011703
	s_and_b32 s82, s82, 0xffffff                               // 000000006370: 8652FF52 00FFFFFF
	s_cmp_lt_u32 s82, s66                                      // 000000006378: BF0A4252
	s_cselect_b32 s21, s36, s60                                // 00000000637C: 85153C24
	s_mov_b64 exec, s[20:21]                                   // 000000006380: BEFE0114
	global_atomic_add_f32 v6, v71, s[8:9] offset:8             // 000000006384: DD348008 00084706
	s_mov_b64 exec, s[36:37]                                   // 00000000638C: BEFE0124
	s_branch label_0E68                                        // 000000006390: BF820000

0000000000006394 <label_0E68>:
	s_waitcnt vmcnt(0) expcnt(0) lgkmcnt(0)                    // 000000006394: BF8C0000
	s_endpgm                                                   // 000000006398: BF810000
